;; amdgpu-corpus repo=ROCm/rocFFT kind=compiled arch=gfx950 opt=O3
	.text
	.amdgcn_target "amdgcn-amd-amdhsa--gfx950"
	.amdhsa_code_object_version 6
	.protected	bluestein_single_fwd_len1584_dim1_sp_op_CI_CI ; -- Begin function bluestein_single_fwd_len1584_dim1_sp_op_CI_CI
	.globl	bluestein_single_fwd_len1584_dim1_sp_op_CI_CI
	.p2align	8
	.type	bluestein_single_fwd_len1584_dim1_sp_op_CI_CI,@function
bluestein_single_fwd_len1584_dim1_sp_op_CI_CI: ; @bluestein_single_fwd_len1584_dim1_sp_op_CI_CI
; %bb.0:
	s_load_dwordx4 s[8:11], s[0:1], 0x28
	v_mul_u32_u24_e32 v1, 0x175, v0
	v_mov_b32_e32 v75, 0
	v_add_u32_sdwa v80, s2, v1 dst_sel:DWORD dst_unused:UNUSED_PAD src0_sel:DWORD src1_sel:WORD_1
	v_mov_b32_e32 v81, v75
	s_waitcnt lgkmcnt(0)
	v_cmp_gt_u64_e32 vcc, s[8:9], v[80:81]
	s_and_saveexec_b64 s[2:3], vcc
	s_cbranch_execz .LBB0_39
; %bb.1:
	s_load_dwordx4 s[4:7], s[0:1], 0x18
	s_load_dwordx2 s[14:15], s[0:1], 0x0
	v_mov_b32_e32 v2, s10
	v_mov_b32_e32 v3, s11
	s_movk_i32 s2, 0xb0
	s_waitcnt lgkmcnt(0)
	s_load_dwordx4 s[8:11], s[4:5], 0x0
	v_mul_lo_u16_sdwa v1, v1, s2 dst_sel:DWORD dst_unused:UNUSED_PAD src0_sel:WORD_1 src1_sel:DWORD
	v_sub_u16_e32 v74, v0, v1
	v_lshlrev_b32_e32 v70, 3, v74
	v_mov_b32_e32 v71, v75
	s_waitcnt lgkmcnt(0)
	v_mad_u64_u32 v[0:1], s[2:3], s10, v80, 0
	v_mov_b32_e32 v4, v1
	v_mad_u64_u32 v[4:5], s[2:3], s11, v80, v[4:5]
	v_mov_b32_e32 v1, v4
	v_mad_u64_u32 v[4:5], s[2:3], s8, v74, 0
	v_mov_b32_e32 v6, v5
	v_mad_u64_u32 v[6:7], s[2:3], s9, v74, v[6:7]
	s_mul_i32 s2, s9, 0x18c
	s_mul_hi_u32 s3, s8, 0x18c
	v_mov_b32_e32 v5, v6
	v_lshl_add_u64 v[0:1], v[0:1], 3, v[2:3]
	s_add_i32 s3, s3, s2
	s_mul_i32 s2, s8, 0x18c
	v_lshl_add_u64 v[0:1], v[4:5], 3, v[0:1]
	s_lshl_b64 s[2:3], s[2:3], 3
	v_lshl_add_u64 v[72:73], s[14:15], 0, v[70:71]
	v_lshl_add_u64 v[2:3], v[0:1], 0, s[2:3]
	s_movk_i32 s4, 0x1000
	global_load_dwordx2 v[92:93], v70, s[14:15]
	global_load_dwordx2 v[90:91], v70, s[14:15] offset:3168
	v_lshl_add_u64 v[4:5], v[2:3], 0, s[2:3]
	global_load_dwordx2 v[6:7], v[0:1], off
	global_load_dwordx2 v[8:9], v[2:3], off
	;; [unrolled: 1-line block ×3, first 2 shown]
	v_add_co_u32_e32 v0, vcc, s4, v72
	s_movk_i32 s4, 0x2000
	s_nop 0
	v_addc_co_u32_e32 v1, vcc, 0, v73, vcc
	s_mul_hi_u32 s5, s8, 0xfffffc0c
	v_add_co_u32_e32 v2, vcc, s4, v72
	s_mul_i32 s4, s9, 0xfffffc0c
	s_sub_i32 s5, s5, s8
	v_lshl_add_u64 v[4:5], v[4:5], 0, s[2:3]
	v_addc_co_u32_e32 v3, vcc, 0, v73, vcc
	s_add_i32 s5, s5, s4
	s_mul_i32 s4, s8, 0xfffffc0c
	global_load_dwordx2 v[88:89], v[0:1], off offset:2240
	global_load_dwordx2 v[82:83], v[2:3], off offset:1312
	global_load_dwordx2 v[12:13], v[4:5], off
	v_lshl_add_u64 v[4:5], s[4:5], 3, v[4:5]
	global_load_dwordx2 v[14:15], v[4:5], off
	global_load_dwordx2 v[84:85], v70, s[14:15] offset:1408
	v_lshl_add_u64 v[4:5], v[4:5], 0, s[2:3]
	global_load_dwordx2 v[16:17], v[4:5], off
	global_load_dwordx2 v[78:79], v[0:1], off offset:3648
	global_load_dwordx2 v[86:87], v[0:1], off offset:480
	v_lshl_add_u64 v[4:5], v[4:5], 0, s[2:3]
	global_load_dwordx2 v[18:19], v[4:5], off
	v_lshl_add_u64 v[4:5], v[4:5], 0, s[2:3]
	global_load_dwordx2 v[76:77], v[2:3], off offset:2720
	global_load_dwordx2 v[20:21], v[4:5], off
	s_load_dwordx2 s[12:13], s[0:1], 0x38
	s_load_dwordx4 s[8:11], s[6:7], 0x0
	v_cmp_gt_u16_e64 s[6:7], 44, v74
	s_waitcnt vmcnt(13)
	v_mul_f32_e32 v22, v7, v93
	v_mul_f32_e32 v23, v6, v93
	v_fmac_f32_e32 v22, v6, v92
	v_fma_f32 v23, v7, v92, -v23
	s_waitcnt vmcnt(12)
	v_mul_f32_e32 v6, v9, v91
	v_mul_f32_e32 v7, v8, v91
	v_fmac_f32_e32 v6, v8, v90
	v_fma_f32 v7, v9, v90, -v7
	ds_write_b64 v70, v[6:7] offset:3168
	s_waitcnt vmcnt(10)
	v_mul_f32_e32 v8, v11, v89
	v_mul_f32_e32 v9, v10, v89
	s_waitcnt vmcnt(8)
	v_mul_f32_e32 v6, v13, v83
	v_mul_f32_e32 v7, v12, v83
	v_fmac_f32_e32 v8, v10, v88
	v_fma_f32 v9, v11, v88, -v9
	v_fmac_f32_e32 v6, v12, v82
	v_fma_f32 v7, v13, v82, -v7
	ds_write_b64 v70, v[8:9] offset:6336
	s_waitcnt vmcnt(6)
	v_mul_f32_e32 v8, v15, v85
	v_mul_f32_e32 v9, v14, v85
	ds_write_b64 v70, v[6:7] offset:9504
	s_waitcnt vmcnt(3)
	v_mul_f32_e32 v6, v17, v87
	v_mul_f32_e32 v7, v16, v87
	v_fmac_f32_e32 v8, v14, v84
	v_fma_f32 v9, v15, v84, -v9
	v_fmac_f32_e32 v6, v16, v86
	v_fma_f32 v7, v17, v86, -v7
	ds_write2_b64 v70, v[22:23], v[8:9] offset1:176
	s_waitcnt vmcnt(2)
	v_mul_f32_e32 v8, v19, v79
	v_mul_f32_e32 v9, v18, v79
	ds_write_b64 v70, v[6:7] offset:4576
	s_waitcnt vmcnt(0)
	v_mul_f32_e32 v6, v21, v77
	v_mul_f32_e32 v7, v20, v77
	v_fmac_f32_e32 v8, v18, v78
	v_fma_f32 v9, v19, v78, -v9
	v_fmac_f32_e32 v6, v20, v76
	v_fma_f32 v7, v21, v76, -v7
	ds_write_b64 v70, v[8:9] offset:7744
	ds_write_b64 v70, v[6:7] offset:10912
	s_and_saveexec_b64 s[16:17], s[6:7]
	s_cbranch_execz .LBB0_3
; %bb.2:
	v_lshl_add_u64 v[4:5], s[4:5], 3, v[4:5]
	global_load_dwordx2 v[6:7], v[4:5], off
	global_load_dwordx2 v[8:9], v[72:73], off offset:2816
	v_lshl_add_u64 v[4:5], v[4:5], 0, s[2:3]
	global_load_dwordx2 v[10:11], v[4:5], off
	v_lshl_add_u64 v[4:5], v[4:5], 0, s[2:3]
	global_load_dwordx2 v[12:13], v[0:1], off offset:1888
	global_load_dwordx2 v[14:15], v[4:5], off
	global_load_dwordx2 v[16:17], v[2:3], off offset:960
	v_add_co_u32_e32 v2, vcc, 0x3000, v72
	v_lshl_add_u64 v[0:1], v[4:5], 0, s[2:3]
	s_nop 0
	v_addc_co_u32_e32 v3, vcc, 0, v73, vcc
	global_load_dwordx2 v[4:5], v[2:3], off offset:32
	global_load_dwordx2 v[18:19], v[0:1], off
	s_waitcnt vmcnt(6)
	v_mul_f32_e32 v0, v7, v9
	v_mul_f32_e32 v1, v6, v9
	s_waitcnt vmcnt(4)
	v_mul_f32_e32 v2, v11, v13
	v_mul_f32_e32 v3, v10, v13
	v_fmac_f32_e32 v0, v6, v8
	v_fma_f32 v1, v7, v8, -v1
	v_fmac_f32_e32 v2, v10, v12
	v_fma_f32 v3, v11, v12, -v3
	ds_write_b64 v70, v[0:1] offset:2816
	s_waitcnt vmcnt(2)
	v_mul_f32_e32 v0, v15, v17
	v_mul_f32_e32 v1, v14, v17
	ds_write_b64 v70, v[2:3] offset:5984
	s_waitcnt vmcnt(0)
	v_mul_f32_e32 v2, v19, v5
	v_mul_f32_e32 v3, v18, v5
	v_fmac_f32_e32 v0, v14, v16
	v_fma_f32 v1, v15, v16, -v1
	v_fmac_f32_e32 v2, v18, v4
	v_fma_f32 v3, v19, v4, -v3
	ds_write_b64 v70, v[0:1] offset:9152
	ds_write_b64 v70, v[2:3] offset:12320
.LBB0_3:
	s_or_b64 exec, exec, s[16:17]
	v_add_u32_e32 v0, 0xc00, v70
	s_waitcnt lgkmcnt(0)
	s_barrier
	ds_read2_b64 v[12:15], v0 offset0:12 offset1:188
	v_add_u32_e32 v0, 0x1800, v70
	v_add_u32_e32 v8, 0x2400, v70
	ds_read2_b64 v[4:7], v70 offset1:176
	ds_read2_b64 v[0:3], v0 offset0:24 offset1:200
	ds_read2_b64 v[8:11], v8 offset0:36 offset1:212
                                        ; implicit-def: $vgpr18
                                        ; implicit-def: $vgpr22
                                        ; implicit-def: $vgpr16
                                        ; implicit-def: $vgpr20
	s_and_saveexec_b64 s[2:3], s[6:7]
	s_cbranch_execz .LBB0_5
; %bb.4:
	ds_read_b64 v[16:17], v70 offset:2816
	ds_read_b64 v[24:25], v70 offset:5984
	;; [unrolled: 1-line block ×4, first 2 shown]
	s_waitcnt lgkmcnt(3)
	v_mov_b32_e32 v18, v16
	s_waitcnt lgkmcnt(2)
	v_mov_b32_e32 v19, v24
	;; [unrolled: 2-line block ×4, first 2 shown]
	v_mov_b32_e32 v16, v25
	v_mov_b32_e32 v20, v27
.LBB0_5:
	s_or_b64 exec, exec, s[2:3]
	s_waitcnt lgkmcnt(1)
	v_pk_add_f32 v[26:27], v[4:5], v[0:1] neg_lo:[0,1] neg_hi:[0,1]
	s_waitcnt lgkmcnt(0)
	v_pk_add_f32 v[28:29], v[12:13], v[8:9] neg_lo:[0,1] neg_hi:[0,1]
	v_pk_add_f32 v[30:31], v[6:7], v[2:3] neg_lo:[0,1] neg_hi:[0,1]
	;; [unrolled: 1-line block ×4, first 2 shown]
	v_mov_b32_e32 v9, v16
	v_lshlrev_b16_e32 v16, 2, v74
	v_pk_fma_f32 v[4:5], v[4:5], 2.0, v[26:27] op_sel_hi:[1,0,1] neg_lo:[0,0,1] neg_hi:[0,0,1]
	v_pk_fma_f32 v[12:13], v[12:13], 2.0, v[28:29] op_sel_hi:[1,0,1] neg_lo:[0,0,1] neg_hi:[0,0,1]
	v_pk_add_f32 v[32:33], v[14:15], v[10:11] neg_lo:[0,1] neg_hi:[0,1]
	v_mov_b32_e32 v1, v17
	v_mov_b32_e32 v8, v19
	;; [unrolled: 1-line block ×4, first 2 shown]
	v_lshlrev_b32_e32 v81, 3, v16
	v_pk_add_f32 v[16:17], v[4:5], v[12:13] neg_lo:[0,1] neg_hi:[0,1]
	v_mov_b32_e32 v0, v18
	v_mov_b32_e32 v22, v2
	;; [unrolled: 1-line block ×3, first 2 shown]
	v_pk_fma_f32 v[8:9], v[8:9], 2.0, v[10:11] op_sel_hi:[1,0,1] neg_lo:[0,0,1] neg_hi:[0,0,1]
	v_pk_add_f32 v[10:11], v[2:3], v[20:21] neg_lo:[0,1] neg_hi:[0,1]
	v_pk_add_f32 v[2:3], v[2:3], v[20:21]
	v_pk_fma_f32 v[20:21], v[4:5], 2.0, v[16:17] op_sel_hi:[1,0,1] neg_lo:[0,0,1] neg_hi:[0,0,1]
	v_pk_add_f32 v[18:19], v[26:27], v[28:29] op_sel:[0,1] op_sel_hi:[1,0] neg_lo:[0,1] neg_hi:[0,1]
	v_pk_add_f32 v[4:5], v[26:27], v[28:29] op_sel:[0,1] op_sel_hi:[1,0]
	s_load_dwordx2 s[0:1], s[0:1], 0x8
	v_mov_b32_e32 v11, v3
	v_mov_b32_e32 v19, v5
	v_pk_fma_f32 v[6:7], v[6:7], 2.0, v[30:31] op_sel_hi:[1,0,1] neg_lo:[0,0,1] neg_hi:[0,0,1]
	v_pk_fma_f32 v[4:5], v[14:15], 2.0, v[32:33] op_sel_hi:[1,0,1] neg_lo:[0,0,1] neg_hi:[0,0,1]
	s_mov_b64 s[2:3], 0xb0
	v_pk_fma_f32 v[0:1], v[0:1], 2.0, v[22:23] op_sel_hi:[1,0,1] neg_lo:[0,0,1] neg_hi:[0,0,1]
	v_pk_fma_f32 v[2:3], v[22:23], 2.0, v[10:11] op_sel_hi:[1,0,1] neg_lo:[0,0,1] neg_hi:[0,0,1]
	;; [unrolled: 1-line block ×3, first 2 shown]
	v_pk_add_f32 v[4:5], v[6:7], v[4:5] neg_lo:[0,1] neg_hi:[0,1]
	v_lshl_add_u64 v[24:25], v[74:75], 0, s[2:3]
	s_mov_b64 s[2:3], 0x160
	s_waitcnt lgkmcnt(0)
	s_barrier
	ds_write_b128 v81, v[20:23]
	ds_write_b128 v81, v[16:19] offset:16
	v_pk_fma_f32 v[12:13], v[6:7], 2.0, v[4:5] op_sel_hi:[1,0,1] neg_lo:[0,0,1] neg_hi:[0,0,1]
	v_pk_add_f32 v[6:7], v[30:31], v[32:33] op_sel:[0,1] op_sel_hi:[1,0] neg_lo:[0,1] neg_hi:[0,1]
	v_pk_add_f32 v[16:17], v[30:31], v[32:33] op_sel:[0,1] op_sel_hi:[1,0]
	v_lshl_add_u64 v[44:45], v[74:75], 0, s[2:3]
	v_pk_add_f32 v[8:9], v[0:1], v[8:9] neg_lo:[0,1] neg_hi:[0,1]
	v_mov_b32_e32 v7, v17
	v_pk_fma_f32 v[0:1], v[0:1], 2.0, v[8:9] op_sel_hi:[1,0,1] neg_lo:[0,0,1] neg_hi:[0,0,1]
	v_lshlrev_b32_e32 v144, 5, v24
	v_pk_fma_f32 v[14:15], v[30:31], 2.0, v[6:7] op_sel_hi:[1,0,1] neg_lo:[0,0,1] neg_hi:[0,0,1]
	v_lshlrev_b32_e32 v145, 5, v44
	ds_write_b128 v144, v[12:15]
	ds_write_b128 v144, v[4:7] offset:16
	s_and_saveexec_b64 s[2:3], s[6:7]
	s_cbranch_execz .LBB0_7
; %bb.6:
	ds_write_b128 v145, v[0:3]
	ds_write_b128 v145, v[8:11] offset:16
.LBB0_7:
	s_or_b64 exec, exec, s[2:3]
	v_add_u32_e32 v12, 0x1800, v70
	s_waitcnt lgkmcnt(0)
	s_barrier
	ds_read2_b64 v[16:19], v12 offset0:24 offset1:200
	v_add_u32_e32 v12, 0xa00, v70
	v_add_u32_e32 v20, 0x2200, v70
	ds_read2_b64 v[4:7], v70 offset1:176
	ds_read2_b64 v[12:15], v12 offset0:32 offset1:208
	ds_read2_b64 v[20:23], v20 offset0:56 offset1:232
	s_movk_i32 s2, 0x58
	v_cmp_gt_u16_e64 s[2:3], s2, v74
	s_and_saveexec_b64 s[4:5], s[2:3]
	s_cbranch_execz .LBB0_9
; %bb.8:
	ds_read_b64 v[0:1], v70 offset:5632
	ds_read_b64 v[2:3], v70 offset:11968
.LBB0_9:
	s_or_b64 exec, exec, s[4:5]
	v_and_b32_e32 v71, 3, v74
	v_lshlrev_b32_e32 v25, 3, v71
	global_load_dwordx2 v[62:63], v25, s[0:1]
	v_lshlrev_b32_e32 v45, 1, v24
	s_movk_i32 s18, 0x3f8
	v_lshlrev_b32_e32 v24, 1, v44
	s_movk_i32 s16, 0x7f8
	v_and_or_b32 v28, v45, s18, v71
	v_and_or_b32 v29, v24, s16, v71
	s_mov_b64 s[4:5], 0x2c0
	v_lshlrev_b32_e32 v150, 3, v28
	v_lshlrev_b32_e32 v149, 3, v29
	;; [unrolled: 1-line block ×3, first 2 shown]
	s_movk_i32 s17, 0x1f8
	v_lshl_add_u64 v[26:27], v[74:75], 0, s[4:5]
	v_and_or_b32 v27, v156, s17, v71
	v_add_u32_e32 v25, 0x420, v156
	v_lshlrev_b32_e32 v151, 3, v27
	v_and_or_b32 v27, v25, s16, v71
	v_lshlrev_b32_e32 v148, 3, v27
	v_lshlrev_b32_e32 v75, 1, v26
	s_waitcnt lgkmcnt(0)
	s_barrier
	s_waitcnt vmcnt(0)
	v_pk_mul_f32 v[28:29], v[2:3], v[62:63] op_sel:[1,0]
	v_pk_mul_f32 v[30:31], v[16:17], v[62:63] op_sel:[0,1]
	;; [unrolled: 1-line block ×5, first 2 shown]
	v_pk_fma_f32 v[38:39], v[2:3], v[62:63], v[28:29] op_sel:[0,0,1] op_sel_hi:[1,1,0] neg_lo:[0,0,1] neg_hi:[0,0,1]
	v_pk_fma_f32 v[2:3], v[2:3], v[62:63], v[28:29] op_sel:[0,0,1] op_sel_hi:[0,1,0]
	v_pk_fma_f32 v[28:29], v[16:17], v[62:63], v[30:31] op_sel:[0,0,1] op_sel_hi:[1,1,0] neg_lo:[0,0,1] neg_hi:[0,0,1]
	v_pk_fma_f32 v[16:17], v[16:17], v[62:63], v[30:31] op_sel:[0,0,1] op_sel_hi:[1,0,0]
	;; [unrolled: 2-line block ×5, first 2 shown]
	v_mov_b32_e32 v39, v3
	v_mov_b32_e32 v29, v17
	;; [unrolled: 1-line block ×5, first 2 shown]
	v_pk_add_f32 v[22:23], v[0:1], v[38:39] neg_lo:[0,1] neg_hi:[0,1]
	v_pk_add_f32 v[2:3], v[4:5], v[28:29] neg_lo:[0,1] neg_hi:[0,1]
	;; [unrolled: 1-line block ×5, first 2 shown]
	v_pk_fma_f32 v[20:21], v[0:1], 2.0, v[22:23] op_sel_hi:[1,0,1] neg_lo:[0,0,1] neg_hi:[0,0,1]
	v_pk_fma_f32 v[0:1], v[4:5], 2.0, v[2:3] op_sel_hi:[1,0,1] neg_lo:[0,0,1] neg_hi:[0,0,1]
	;; [unrolled: 1-line block ×5, first 2 shown]
	ds_write2_b64 v151, v[0:1], v[2:3] offset1:4
	ds_write2_b64 v150, v[4:5], v[16:17] offset1:4
	;; [unrolled: 1-line block ×4, first 2 shown]
	s_and_saveexec_b64 s[4:5], s[2:3]
	s_cbranch_execz .LBB0_11
; %bb.10:
	v_and_or_b32 v0, v75, s16, v71
	v_lshlrev_b32_e32 v0, 3, v0
	ds_write2_b64 v0, v[20:21], v[22:23] offset1:4
.LBB0_11:
	s_or_b64 exec, exec, s[4:5]
	v_add_u32_e32 v4, 0x1800, v70
	s_waitcnt lgkmcnt(0)
	s_barrier
	ds_read2_b64 v[12:15], v4 offset0:24 offset1:200
	v_add_u32_e32 v4, 0xa00, v70
	v_add_u32_e32 v16, 0x2200, v70
	ds_read2_b64 v[0:3], v70 offset1:176
	ds_read2_b64 v[4:7], v4 offset0:32 offset1:208
	ds_read2_b64 v[16:19], v16 offset0:56 offset1:232
	s_and_saveexec_b64 s[4:5], s[2:3]
	s_cbranch_execz .LBB0_13
; %bb.12:
	ds_read_b64 v[20:21], v70 offset:5632
	ds_read_b64 v[22:23], v70 offset:11968
.LBB0_13:
	s_or_b64 exec, exec, s[4:5]
	v_and_b32_e32 v146, 7, v74
	v_lshlrev_b32_e32 v26, 3, v146
	global_load_dwordx2 v[94:95], v26, s[0:1] offset:32
	s_movk_i32 s4, 0x1f0
	s_movk_i32 s5, 0x3f0
	;; [unrolled: 1-line block ×3, first 2 shown]
	v_and_or_b32 v26, v156, s4, v146
	v_and_or_b32 v27, v45, s5, v146
	;; [unrolled: 1-line block ×4, first 2 shown]
	v_lshlrev_b32_e32 v152, 3, v26
	v_lshlrev_b32_e32 v153, 3, v27
	;; [unrolled: 1-line block ×4, first 2 shown]
	s_waitcnt lgkmcnt(0)
	s_barrier
	s_waitcnt vmcnt(0)
	v_pk_mul_f32 v[24:25], v[12:13], v[94:95] op_sel:[0,1]
	v_pk_mul_f32 v[26:27], v[14:15], v[94:95] op_sel:[0,1]
	;; [unrolled: 1-line block ×5, first 2 shown]
	v_pk_fma_f32 v[34:35], v[12:13], v[94:95], v[24:25] op_sel:[0,0,1] op_sel_hi:[1,1,0] neg_lo:[0,0,1] neg_hi:[0,0,1]
	v_pk_fma_f32 v[12:13], v[12:13], v[94:95], v[24:25] op_sel:[0,0,1] op_sel_hi:[1,0,0]
	v_pk_fma_f32 v[24:25], v[14:15], v[94:95], v[26:27] op_sel:[0,0,1] op_sel_hi:[1,1,0] neg_lo:[0,0,1] neg_hi:[0,0,1]
	v_pk_fma_f32 v[14:15], v[14:15], v[94:95], v[26:27] op_sel:[0,0,1] op_sel_hi:[1,0,0]
	;; [unrolled: 2-line block ×5, first 2 shown]
	v_mov_b32_e32 v35, v13
	v_mov_b32_e32 v25, v15
	v_mov_b32_e32 v37, v17
	v_mov_b32_e32 v29, v19
	v_mov_b32_e32 v41, v23
	v_pk_add_f32 v[26:27], v[0:1], v[34:35] neg_lo:[0,1] neg_hi:[0,1]
	v_pk_add_f32 v[38:39], v[2:3], v[24:25] neg_lo:[0,1] neg_hi:[0,1]
	;; [unrolled: 1-line block ×5, first 2 shown]
	v_pk_fma_f32 v[24:25], v[0:1], 2.0, v[26:27] op_sel_hi:[1,0,1] neg_lo:[0,0,1] neg_hi:[0,0,1]
	v_pk_fma_f32 v[36:37], v[2:3], 2.0, v[38:39] op_sel_hi:[1,0,1] neg_lo:[0,0,1] neg_hi:[0,0,1]
	;; [unrolled: 1-line block ×5, first 2 shown]
	ds_write2_b64 v152, v[24:25], v[26:27] offset1:8
	ds_write2_b64 v153, v[36:37], v[38:39] offset1:8
	;; [unrolled: 1-line block ×4, first 2 shown]
	s_and_saveexec_b64 s[4:5], s[2:3]
	s_cbranch_execz .LBB0_15
; %bb.14:
	v_and_or_b32 v0, v75, s16, v146
	v_lshlrev_b32_e32 v0, 3, v0
	ds_write2_b64 v0, v[40:41], v[42:43] offset1:8
.LBB0_15:
	s_or_b64 exec, exec, s[4:5]
	s_movk_i32 s4, 0x90
	v_cmp_gt_u16_e64 s[4:5], s4, v74
	s_waitcnt lgkmcnt(0)
	s_barrier
	s_and_saveexec_b64 s[16:17], s[4:5]
	s_cbranch_execz .LBB0_17
; %bb.16:
	v_add_u32_e32 v0, 0x800, v70
	ds_read2_b64 v[36:39], v0 offset0:32 offset1:176
	v_add_u32_e32 v0, 0x1000, v70
	ds_read2_b64 v[28:31], v0 offset0:64 offset1:208
	v_add_u32_e32 v0, 0x1800, v70
	ds_read2_b64 v[32:35], v0 offset0:96 offset1:240
	v_add_u32_e32 v0, 0x2400, v70
	ds_read2_b64 v[24:27], v70 offset1:144
	ds_read2_b64 v[40:43], v0 offset1:144
	ds_read_b64 v[8:9], v70 offset:11520
.LBB0_17:
	s_or_b64 exec, exec, s[16:17]
	v_and_b32_e32 v147, 15, v74
	s_movk_i32 s16, 0x50
	v_mov_b64_e32 v[0:1], s[0:1]
	v_mad_u64_u32 v[46:47], s[16:17], v147, s16, v[0:1]
	global_load_dwordx4 v[0:3], v[46:47], off offset:96
	global_load_dwordx4 v[4:7], v[46:47], off offset:112
	;; [unrolled: 1-line block ×5, first 2 shown]
	s_waitcnt lgkmcnt(2)
	v_mov_b32_e32 v58, v27
	s_mov_b32 s20, 0xbf0a6770
	s_mov_b32 s26, 0xbf68dda4
	;; [unrolled: 1-line block ×12, first 2 shown]
	s_waitcnt lgkmcnt(0)
	s_barrier
	s_waitcnt vmcnt(4)
	v_pk_mul_f32 v[46:47], v[26:27], v[0:1]
	s_nop 0
	v_mov_b32_e32 v46, v1
	v_pk_mul_f32 v[48:49], v[36:37], v[2:3] op_sel:[1,0]
	s_waitcnt vmcnt(3)
	v_pk_mul_f32 v[50:51], v[38:39], v[4:5] op_sel:[1,0]
	s_waitcnt vmcnt(2)
	;; [unrolled: 2-line block ×3, first 2 shown]
	v_pk_mul_f32 v[54:55], v[42:43], v[20:21] op_sel:[1,0]
	v_pk_mul_f32 v[60:61], v[8:9], v[22:23] op_sel:[1,0]
	;; [unrolled: 1-line block ×3, first 2 shown]
	s_waitcnt vmcnt(0)
	v_pk_mul_f32 v[64:65], v[30:31], v[16:17] op_sel:[1,0]
	v_pk_mul_f32 v[66:67], v[32:33], v[18:19] op_sel:[1,0]
	v_mov_b32_e32 v96, v47
	v_pk_mul_f32 v[98:99], v[26:27], v[46:47]
	v_pk_fma_f32 v[46:47], v[36:37], v[2:3], v[48:49] op_sel:[0,0,1] op_sel_hi:[1,1,0] neg_lo:[0,0,1] neg_hi:[0,0,1]
	v_pk_fma_f32 v[36:37], v[36:37], v[2:3], v[48:49] op_sel:[0,0,1] op_sel_hi:[0,1,0]
	v_pk_fma_f32 v[48:49], v[38:39], v[4:5], v[50:51] op_sel:[0,0,1] op_sel_hi:[1,1,0] neg_lo:[0,0,1] neg_hi:[0,0,1]
	v_pk_fma_f32 v[100:101], v[38:39], v[4:5], v[50:51] op_sel:[0,0,1] op_sel_hi:[0,1,0]
	;; [unrolled: 2-line block ×8, first 2 shown]
	v_pk_fma_f32 v[66:67], v[26:27], v[0:1], v[96:97] neg_lo:[0,0,1] neg_hi:[0,0,1]
	v_pk_fma_f32 v[32:33], v[58:59], v[0:1], v[98:99]
	v_mov_b32_e32 v55, v9
	v_mov_b32_e32 v8, v9
	;; [unrolled: 1-line block ×3, first 2 shown]
	v_pk_add_f32 v[108:109], v[66:67], v[54:55] neg_lo:[0,1] neg_hi:[0,1]
	v_pk_add_f32 v[28:29], v[32:33], v[8:9] neg_lo:[0,1] neg_hi:[0,1]
	v_pk_mul_f32 v[68:69], v[34:35], v[12:13] op_sel:[1,0]
	v_mov_b32_e32 v47, v37
	v_mov_b32_e32 v41, v105
	v_pk_add_f32 v[106:107], v[66:67], v[54:55]
	v_pk_add_f32 v[114:115], v[32:33], v[8:9]
	v_mov_b32_e32 v8, v28
	v_mov_b32_e32 v9, v108
	v_pk_fma_f32 v[56:57], v[34:35], v[12:13], v[68:69] op_sel:[0,0,1] op_sel_hi:[1,1,0] neg_lo:[0,0,1] neg_hi:[0,0,1]
	v_pk_fma_f32 v[34:35], v[34:35], v[12:13], v[68:69] op_sel:[0,0,1] op_sel_hi:[0,1,0]
	v_pk_add_f32 v[124:125], v[46:47], v[40:41] neg_lo:[0,1] neg_hi:[0,1]
	v_mov_b32_e32 v107, v114
	v_pk_mul_f32 v[36:37], v[8:9], s[20:21] op_sel_hi:[1,0]
	v_pk_mul_f32 v[8:9], v[8:9], s[26:27] op_sel_hi:[1,0]
	v_mov_b32_e32 v39, v103
	v_mov_b32_e32 v51, v31
	;; [unrolled: 1-line block ×3, first 2 shown]
	v_pk_add_f32 v[26:27], v[46:47], v[40:41]
	v_pk_mul_f32 v[30:31], v[124:125], s[26:27] op_sel:[1,0] op_sel_hi:[0,0]
	v_pk_mul_f32 v[34:35], v[124:125], s[22:23] op_sel:[1,0] op_sel_hi:[0,0]
	v_pk_fma_f32 v[102:103], v[106:107], s[16:17], v[36:37] op_sel_hi:[1,0,1]
	v_pk_fma_f32 v[104:105], v[106:107], s[16:17], v[36:37] op_sel_hi:[1,0,1] neg_lo:[0,0,1] neg_hi:[0,0,1]
	v_pk_fma_f32 v[68:69], v[106:107], s[18:19], v[8:9] op_sel_hi:[1,0,1]
	v_pk_fma_f32 v[96:97], v[106:107], s[18:19], v[8:9] op_sel_hi:[1,0,1] neg_lo:[0,0,1] neg_hi:[0,0,1]
	v_mov_b32_e32 v49, v101
	v_mov_b32_e32 v53, v65
	v_pk_fma_f32 v[98:99], v[26:27], s[18:19], v[30:31] op_sel_hi:[1,0,1]
	v_pk_fma_f32 v[100:101], v[26:27], s[18:19], v[30:31] op_sel_hi:[1,0,1] neg_lo:[0,0,1] neg_hi:[0,0,1]
	v_pk_fma_f32 v[58:59], v[26:27], s[24:25], v[34:35] op_sel_hi:[1,0,1]
	v_pk_fma_f32 v[64:65], v[26:27], s[24:25], v[34:35] op_sel_hi:[1,0,1] neg_lo:[0,0,1] neg_hi:[0,0,1]
	v_mov_b32_e32 v34, v102
	v_mov_b32_e32 v35, v105
	;; [unrolled: 1-line block ×8, first 2 shown]
	v_pk_add_f32 v[34:35], v[24:25], v[34:35]
	v_pk_add_f32 v[36:37], v[24:25], v[36:37]
	s_mov_b32 s26, 0xbf7d64f0
	v_pk_add_f32 v[138:139], v[48:49], v[38:39] neg_lo:[0,1] neg_hi:[0,1]
	v_pk_add_f32 v[34:35], v[30:31], v[34:35]
	v_pk_add_f32 v[8:9], v[8:9], v[36:37]
	;; [unrolled: 1-line block ×3, first 2 shown]
	v_pk_mul_f32 v[36:37], v[138:139], s[26:27] op_sel:[1,0] op_sel_hi:[0,0]
	v_pk_fma_f32 v[116:117], v[30:31], s[28:29], v[36:37] op_sel_hi:[1,0,1]
	v_pk_fma_f32 v[118:119], v[30:31], s[28:29], v[36:37] op_sel_hi:[1,0,1] neg_lo:[0,0,1] neg_hi:[0,0,1]
	v_mov_b32_e32 v36, v116
	v_mov_b32_e32 v37, v119
	v_pk_add_f32 v[36:37], v[36:37], v[34:35]
	v_pk_mul_f32 v[34:35], v[138:139], s[42:43] op_sel:[1,0] op_sel_hi:[0,0]
	v_pk_fma_f32 v[110:111], v[30:31], s[36:37], v[34:35] op_sel_hi:[1,0,1]
	v_pk_fma_f32 v[112:113], v[30:31], s[36:37], v[34:35] op_sel_hi:[1,0,1] neg_lo:[0,0,1] neg_hi:[0,0,1]
	v_mov_b32_e32 v34, v110
	v_mov_b32_e32 v35, v113
	v_pk_add_f32 v[140:141], v[42:43], v[56:57] neg_lo:[0,1] neg_hi:[0,1]
	v_pk_add_f32 v[8:9], v[34:35], v[8:9]
	v_pk_add_f32 v[34:35], v[42:43], v[56:57]
	v_pk_mul_f32 v[60:61], v[140:141], s[22:23] op_sel:[1,0] op_sel_hi:[0,0]
	v_pk_fma_f32 v[126:127], v[34:35], s[24:25], v[60:61] op_sel_hi:[1,0,1]
	v_pk_fma_f32 v[128:129], v[34:35], s[24:25], v[60:61] op_sel_hi:[1,0,1] neg_lo:[0,0,1] neg_hi:[0,0,1]
	v_mov_b32_e32 v60, v126
	v_mov_b32_e32 v61, v129
	v_pk_add_f32 v[60:61], v[60:61], v[36:37]
	v_pk_mul_f32 v[36:37], v[140:141], s[40:41] op_sel:[1,0] op_sel_hi:[0,0]
	v_pk_fma_f32 v[120:121], v[34:35], s[28:29], v[36:37] op_sel_hi:[1,0,1]
	v_pk_fma_f32 v[122:123], v[34:35], s[28:29], v[36:37] op_sel_hi:[1,0,1] neg_lo:[0,0,1] neg_hi:[0,0,1]
	v_mov_b32_e32 v36, v120
	v_mov_b32_e32 v37, v123
	v_pk_add_f32 v[142:143], v[50:51], v[52:53] neg_lo:[0,1] neg_hi:[0,1]
	v_pk_add_f32 v[158:159], v[36:37], v[8:9]
	v_pk_add_f32 v[36:37], v[50:51], v[52:53]
	v_pk_mul_f32 v[8:9], v[142:143], s[34:35] op_sel:[1,0] op_sel_hi:[0,0]
	v_pk_fma_f32 v[134:135], v[36:37], s[36:37], v[8:9] op_sel_hi:[1,0,1]
	v_pk_fma_f32 v[136:137], v[36:37], s[36:37], v[8:9] op_sel_hi:[1,0,1] neg_lo:[0,0,1] neg_hi:[0,0,1]
	v_mov_b32_e32 v8, v134
	v_mov_b32_e32 v9, v137
	v_pk_add_f32 v[8:9], v[8:9], v[60:61]
	v_pk_mul_f32 v[60:61], v[142:143], s[38:39] op_sel:[1,0] op_sel_hi:[0,0]
	v_pk_fma_f32 v[130:131], v[36:37], s[16:17], v[60:61] op_sel_hi:[1,0,1]
	v_pk_fma_f32 v[132:133], v[36:37], s[16:17], v[60:61] op_sel_hi:[1,0,1] neg_lo:[0,0,1] neg_hi:[0,0,1]
	v_mov_b32_e32 v60, v130
	v_mov_b32_e32 v61, v133
	v_pk_add_f32 v[60:61], v[60:61], v[158:159]
	v_lshrrev_b32_e32 v109, 4, v74
	v_mov_b32_e32 v33, 0
	s_and_saveexec_b64 s[30:31], s[4:5]
	s_cbranch_execz .LBB0_19
; %bb.18:
	v_mov_b32_e32 v67, v32
	v_pk_add_f32 v[66:67], v[24:25], v[66:67]
	v_mov_b32_e32 v105, v103
	v_pk_add_f32 v[46:47], v[66:67], v[46:47]
	;; [unrolled: 2-line block ×4, first 2 shown]
	v_mul_u32_u24_e32 v58, 0xb0, v109
	v_pk_add_f32 v[42:43], v[42:43], v[50:51]
	v_mov_b32_e32 v129, v127
	v_pk_add_f32 v[42:43], v[42:43], v[52:53]
	v_mov_b32_e32 v107, v108
	v_pk_add_f32 v[42:43], v[42:43], v[56:57]
	s_mov_b32 s29, s26
	v_pk_add_f32 v[38:39], v[42:43], v[38:39]
	v_or_b32_e32 v58, v58, v147
	v_pk_add_f32 v[38:39], v[38:39], v[40:41]
	v_pk_add_f32 v[40:41], v[24:25], v[104:105]
	v_mov_b32_e32 v137, v135
	v_pk_add_f32 v[40:41], v[100:101], v[40:41]
	v_mov_b32_e32 v158, v125
	;; [unrolled: 2-line block ×4, first 2 shown]
	v_mov_b32_e32 v125, v138
	v_mov_b32_e32 v138, v141
	;; [unrolled: 1-line block ×7, first 2 shown]
	s_mov_b32 s27, s28
	v_pk_mul_f32 v[114:115], v[106:107], s[28:29]
	v_lshlrev_b32_e32 v108, 3, v58
	v_pk_add_f32 v[38:39], v[38:39], v[54:55]
	v_pk_add_f32 v[40:41], v[136:137], v[40:41]
	s_mov_b32 s37, s34
	ds_write2_b64 v108, v[38:39], v[40:41] offset1:16
	v_pk_mul_f32 v[40:41], v[158:159], s[42:43] op_sel_hi:[1,0]
	v_pk_fma_f32 v[50:51], v[28:29], s[26:27], v[114:115] neg_lo:[1,0,0] neg_hi:[1,0,0]
	v_pk_fma_f32 v[52:53], v[142:143], s[26:27], v[114:115]
	s_mov_b32 s42, 0x3f68dda4
	v_mov_b32_e32 v51, v53
	v_pk_fma_f32 v[54:55], v[26:27], s[36:37], v[40:41] op_sel_hi:[1,0,1] neg_lo:[0,0,1] neg_hi:[0,0,1]
	v_pk_fma_f32 v[40:41], v[26:27], s[36:37], v[40:41] op_sel_hi:[1,0,1]
	v_pk_mul_f32 v[42:43], v[124:125], s[42:43] op_sel_hi:[1,0]
	v_pk_add_f32 v[50:51], v[24:25], v[50:51]
	v_mov_b32_e32 v56, v54
	v_mov_b32_e32 v57, v41
	v_pk_add_f32 v[50:51], v[56:57], v[50:51]
	v_pk_fma_f32 v[56:57], v[30:31], s[18:19], v[42:43] op_sel_hi:[1,0,1] neg_lo:[0,0,1] neg_hi:[0,0,1]
	v_pk_fma_f32 v[42:43], v[30:31], s[18:19], v[42:43] op_sel_hi:[1,0,1]
	v_mov_b32_e32 v97, v69
	v_mov_b32_e32 v65, v59
	v_pk_mul_f32 v[46:47], v[138:139], s[20:21] op_sel_hi:[1,0]
	v_mov_b32_e32 v58, v56
	v_mov_b32_e32 v59, v43
	s_mov_b32 s23, s24
	v_pk_add_f32 v[38:39], v[24:25], v[96:97]
	v_pk_add_f32 v[50:51], v[58:59], v[50:51]
	v_pk_fma_f32 v[58:59], v[34:35], s[16:17], v[46:47] op_sel_hi:[1,0,1] neg_lo:[0,0,1] neg_hi:[0,0,1]
	v_pk_fma_f32 v[46:47], v[34:35], s[16:17], v[46:47] op_sel_hi:[1,0,1]
	s_mov_b32 s25, s22
	v_pk_add_f32 v[38:39], v[64:65], v[38:39]
	v_mov_b32_e32 v113, v111
	v_pk_mul_f32 v[48:49], v[140:141], s[22:23] op_sel_hi:[1,0]
	v_mov_b32_e32 v64, v58
	v_mov_b32_e32 v65, v47
	v_pk_add_f32 v[38:39], v[112:113], v[38:39]
	v_mov_b32_e32 v123, v121
	v_pk_add_f32 v[50:51], v[64:65], v[50:51]
	v_pk_fma_f32 v[64:65], v[36:37], s[24:25], v[48:49] op_sel_hi:[1,0,1] neg_lo:[0,0,1] neg_hi:[0,0,1]
	v_pk_fma_f32 v[48:49], v[36:37], s[24:25], v[48:49] op_sel_hi:[1,0,1]
	v_pk_add_f32 v[38:39], v[122:123], v[38:39]
	v_mov_b32_e32 v133, v131
	v_mov_b32_e32 v66, v64
	;; [unrolled: 1-line block ×3, first 2 shown]
	v_pk_mul_f32 v[160:161], v[106:107], s[36:37]
	v_pk_mul_f32 v[106:107], v[106:107], s[24:25]
	v_pk_add_f32 v[38:39], v[132:133], v[38:39]
	v_pk_add_f32 v[50:51], v[66:67], v[50:51]
	ds_write2_b64 v108, v[38:39], v[50:51] offset0:32 offset1:48
	v_pk_fma_f32 v[38:39], v[28:29], s[22:23], v[106:107] neg_lo:[1,0,0] neg_hi:[1,0,0]
	v_pk_fma_f32 v[50:51], v[142:143], s[22:23], v[106:107]
	v_pk_mul_f32 v[66:67], v[158:159], s[40:41] op_sel_hi:[1,0]
	v_mov_b32_e32 v39, v51
	v_pk_fma_f32 v[68:69], v[26:27], s[28:29], v[66:67] op_sel_hi:[1,0,1] neg_lo:[0,0,1] neg_hi:[0,0,1]
	v_pk_fma_f32 v[66:67], v[26:27], s[28:29], v[66:67] op_sel_hi:[1,0,1]
	v_pk_add_f32 v[38:39], v[24:25], v[38:39]
	v_mov_b32_e32 v96, v68
	v_mov_b32_e32 v97, v67
	v_pk_add_f32 v[38:39], v[96:97], v[38:39]
	v_pk_mul_f32 v[96:97], v[124:125], s[20:21] op_sel_hi:[1,0]
	s_mov_b32 s35, s36
	v_pk_fma_f32 v[98:99], v[30:31], s[16:17], v[96:97] op_sel_hi:[1,0,1] neg_lo:[0,0,1] neg_hi:[0,0,1]
	v_pk_fma_f32 v[96:97], v[30:31], s[16:17], v[96:97] op_sel_hi:[1,0,1]
	v_mov_b32_e32 v100, v98
	v_mov_b32_e32 v101, v97
	v_pk_add_f32 v[38:39], v[100:101], v[38:39]
	v_pk_mul_f32 v[100:101], v[138:139], s[34:35] op_sel_hi:[1,0]
	v_pk_fma_f32 v[28:29], v[28:29], s[34:35], v[160:161] neg_lo:[1,0,0] neg_hi:[1,0,0]
	v_pk_fma_f32 v[102:103], v[34:35], s[36:37], v[100:101] op_sel_hi:[1,0,1] neg_lo:[0,0,1] neg_hi:[0,0,1]
	v_pk_fma_f32 v[100:101], v[34:35], s[36:37], v[100:101] op_sel_hi:[1,0,1]
	v_mov_b32_e32 v104, v102
	v_mov_b32_e32 v105, v101
	v_pk_add_f32 v[38:39], v[104:105], v[38:39]
	v_pk_mul_f32 v[104:105], v[140:141], s[42:43] op_sel_hi:[1,0]
	v_pk_fma_f32 v[122:123], v[142:143], s[34:35], v[160:161]
	v_pk_fma_f32 v[110:111], v[36:37], s[18:19], v[104:105] op_sel_hi:[1,0,1] neg_lo:[0,0,1] neg_hi:[0,0,1]
	v_pk_fma_f32 v[104:105], v[36:37], s[18:19], v[104:105] op_sel_hi:[1,0,1]
	v_mov_b32_e32 v112, v110
	v_mov_b32_e32 v113, v105
	v_pk_add_f32 v[38:39], v[112:113], v[38:39]
	v_pk_mul_f32 v[112:113], v[158:159], s[38:39] op_sel_hi:[1,0]
	v_pk_mul_f32 v[116:117], v[124:125], s[22:23] op_sel_hi:[1,0]
	v_mov_b32_e32 v29, v123
	v_pk_fma_f32 v[124:125], v[26:27], s[16:17], v[112:113] op_sel_hi:[1,0,1] neg_lo:[0,0,1] neg_hi:[0,0,1]
	v_pk_fma_f32 v[26:27], v[26:27], s[16:17], v[112:113] op_sel_hi:[1,0,1]
	v_pk_add_f32 v[28:29], v[24:25], v[28:29]
	v_mov_b32_e32 v112, v124
	v_mov_b32_e32 v113, v27
	v_pk_add_f32 v[28:29], v[112:113], v[28:29]
	v_pk_fma_f32 v[112:113], v[30:31], s[24:25], v[116:117] op_sel_hi:[1,0,1] neg_lo:[0,0,1] neg_hi:[0,0,1]
	v_pk_fma_f32 v[30:31], v[30:31], s[24:25], v[116:117] op_sel_hi:[1,0,1]
	v_pk_mul_f32 v[118:119], v[138:139], s[42:43] op_sel_hi:[1,0]
	v_mov_b32_e32 v116, v112
	v_mov_b32_e32 v117, v31
	v_pk_add_f32 v[28:29], v[116:117], v[28:29]
	v_pk_fma_f32 v[116:117], v[34:35], s[18:19], v[118:119] op_sel_hi:[1,0,1] neg_lo:[0,0,1] neg_hi:[0,0,1]
	v_pk_fma_f32 v[34:35], v[34:35], s[18:19], v[118:119] op_sel_hi:[1,0,1]
	v_pk_mul_f32 v[120:121], v[140:141], s[26:27] op_sel_hi:[1,0]
	v_mov_b32_e32 v118, v116
	v_mov_b32_e32 v119, v35
	v_pk_add_f32 v[28:29], v[118:119], v[28:29]
	v_pk_fma_f32 v[118:119], v[36:37], s[28:29], v[120:121] op_sel_hi:[1,0,1] neg_lo:[0,0,1] neg_hi:[0,0,1]
	v_pk_fma_f32 v[36:37], v[36:37], s[28:29], v[120:121] op_sel_hi:[1,0,1]
	v_mov_b32_e32 v120, v118
	v_mov_b32_e32 v121, v37
	v_pk_add_f32 v[28:29], v[120:121], v[28:29]
	ds_write2_b64 v108, v[38:39], v[28:29] offset0:64 offset1:80
	v_pk_fma_f32 v[28:29], v[142:143], s[34:35], v[160:161] neg_lo:[0,0,1] neg_hi:[0,0,1]
	v_mov_b32_e32 v27, v125
	v_mov_b32_e32 v123, v29
	v_pk_add_f32 v[28:29], v[24:25], v[122:123]
	v_mov_b32_e32 v67, v69
	v_pk_add_f32 v[26:27], v[26:27], v[28:29]
	v_pk_fma_f32 v[28:29], v[142:143], s[22:23], v[106:107] neg_lo:[0,0,1] neg_hi:[0,0,1]
	v_mov_b32_e32 v31, v113
	v_mov_b32_e32 v51, v29
	v_pk_add_f32 v[28:29], v[24:25], v[50:51]
	v_mov_b32_e32 v97, v99
	v_pk_add_f32 v[28:29], v[66:67], v[28:29]
	v_pk_add_f32 v[26:27], v[30:31], v[26:27]
	v_mov_b32_e32 v35, v117
	v_pk_add_f32 v[28:29], v[96:97], v[28:29]
	v_mov_b32_e32 v101, v103
	;; [unrolled: 2-line block ×4, first 2 shown]
	v_pk_add_f32 v[26:27], v[36:37], v[26:27]
	v_pk_add_f32 v[28:29], v[104:105], v[28:29]
	ds_write2_b64 v108, v[26:27], v[28:29] offset0:96 offset1:112
	v_pk_fma_f32 v[26:27], v[142:143], s[26:27], v[114:115] neg_lo:[0,0,1] neg_hi:[0,0,1]
	v_mov_b32_e32 v41, v55
	v_mov_b32_e32 v53, v27
	v_pk_add_f32 v[24:25], v[24:25], v[52:53]
	v_mov_b32_e32 v43, v57
	v_pk_add_f32 v[24:25], v[40:41], v[24:25]
	;; [unrolled: 2-line block ×4, first 2 shown]
	s_nop 0
	v_pk_add_f32 v[24:25], v[48:49], v[24:25]
	ds_write2_b64 v108, v[24:25], v[60:61] offset0:128 offset1:144
	ds_write_b64 v108, v[8:9] offset:1280
.LBB0_19:
	s_or_b64 exec, exec, s[30:31]
	v_lshlrev_b32_e32 v32, 3, v74
	v_lshl_add_u64 v[46:47], s[14:15], 0, v[32:33]
	s_mov_b32 s14, 0xba2f
	v_lshlrev_b32_e32 v32, 3, v156
	v_mul_u32_u24_sdwa v28, v44, s14 dst_sel:DWORD dst_unused:UNUSED_PAD src0_sel:WORD_0 src1_sel:DWORD
	s_waitcnt lgkmcnt(0)
	s_barrier
	global_load_dwordx4 v[24:27], v32, s[0:1] offset:1376
	v_lshrrev_b32_e32 v28, 23, v28
	v_mul_lo_u16_e32 v28, 0xb0, v28
	v_sub_u16_e32 v58, v44, v28
	v_lshl_add_u64 v[42:43], s[0:1], 0, v[32:33]
	v_lshlrev_b16_e32 v32, 4, v58
	v_lshl_add_u64 v[28:29], s[0:1], 0, v[32:33]
	global_load_dwordx4 v[28:31], v[28:29], off offset:1376
	ds_read2_b64 v[34:37], v70 offset1:176
	v_add_u32_e32 v96, 0xa00, v70
	v_add_u32_e32 v97, 0x2000, v70
	;; [unrolled: 1-line block ×3, first 2 shown]
	ds_read_b64 v[56:57], v70 offset:11264
	ds_read2_b64 v[38:41], v96 offset0:32 offset1:208
	ds_read2_b64 v[48:51], v97 offset0:32 offset1:208
	;; [unrolled: 1-line block ×3, first 2 shown]
	v_lshlrev_b32_e32 v106, 3, v58
	s_mov_b32 s14, 0x3f5db3d7
	s_waitcnt lgkmcnt(0)
	s_barrier
	v_add_u32_e32 v98, 0x2000, v106
	v_add_u32_e32 v108, 0x1e00, v70
	s_waitcnt vmcnt(1)
	v_pk_mul_f32 v[58:59], v[40:41], v[24:25] op_sel:[0,1]
	v_mov_b32_e32 v32, v27
	v_pk_mul_f32 v[64:65], v[52:53], v[24:25] op_sel:[0,1]
	v_pk_fma_f32 v[66:67], v[40:41], v[24:25], v[58:59] op_sel:[0,0,1] op_sel_hi:[1,1,0] neg_lo:[0,0,1] neg_hi:[0,0,1]
	v_pk_fma_f32 v[40:41], v[40:41], v[24:25], v[58:59] op_sel:[0,0,1] op_sel_hi:[1,0,0]
	v_pk_mul_f32 v[58:59], v[48:49], v[32:33] op_sel_hi:[1,0]
	v_pk_fma_f32 v[68:69], v[52:53], v[24:25], v[64:65] op_sel:[0,0,1] op_sel_hi:[1,1,0] neg_lo:[0,0,1] neg_hi:[0,0,1]
	v_pk_fma_f32 v[52:53], v[52:53], v[24:25], v[64:65] op_sel:[0,0,1] op_sel_hi:[1,0,0]
	v_pk_mul_f32 v[64:65], v[50:51], v[32:33] op_sel_hi:[1,0]
	v_mov_b32_e32 v67, v41
	v_pk_fma_f32 v[40:41], v[48:49], v[26:27], v[58:59] op_sel:[0,0,1] op_sel_hi:[1,1,0] neg_lo:[0,0,1] neg_hi:[0,0,1]
	v_pk_fma_f32 v[48:49], v[48:49], v[26:27], v[58:59] op_sel:[0,0,1] op_sel_hi:[1,0,0]
	v_mov_b32_e32 v69, v53
	v_pk_fma_f32 v[52:53], v[50:51], v[26:27], v[64:65] op_sel:[0,0,1] op_sel_hi:[1,1,0] neg_lo:[0,0,1] neg_hi:[0,0,1]
	v_pk_fma_f32 v[50:51], v[50:51], v[26:27], v[64:65] op_sel:[0,0,1] op_sel_hi:[1,0,0]
	v_mov_b32_e32 v41, v49
	v_pk_add_f32 v[48:49], v[34:35], v[66:67]
	v_mov_b32_e32 v53, v51
	v_pk_add_f32 v[50:51], v[36:37], v[68:69]
	v_pk_add_f32 v[58:59], v[66:67], v[40:41]
	v_pk_add_f32 v[64:65], v[66:67], v[40:41] neg_lo:[0,1] neg_hi:[0,1]
	v_pk_add_f32 v[40:41], v[48:49], v[40:41]
	v_pk_add_f32 v[48:49], v[68:69], v[52:53]
	v_pk_add_f32 v[66:67], v[68:69], v[52:53] neg_lo:[0,1] neg_hi:[0,1]
	v_pk_add_f32 v[50:51], v[50:51], v[52:53]
	v_pk_fma_f32 v[34:35], v[58:59], 0.5, v[34:35] op_sel_hi:[1,0,1] neg_lo:[1,0,0] neg_hi:[1,0,0]
	v_pk_mul_f32 v[52:53], v[64:65], s[14:15] op_sel_hi:[1,0]
	s_waitcnt vmcnt(0)
	v_pk_mul_f32 v[58:59], v[54:55], v[28:29] op_sel:[0,1]
	v_mov_b32_e32 v32, v31
	v_pk_fma_f32 v[36:37], v[48:49], 0.5, v[36:37] op_sel_hi:[1,0,1] neg_lo:[1,0,0] neg_hi:[1,0,0]
	v_pk_mul_f32 v[48:49], v[66:67], s[14:15] op_sel_hi:[1,0]
	v_pk_add_f32 v[64:65], v[34:35], v[52:53] op_sel:[0,1] op_sel_hi:[1,0] neg_lo:[0,1] neg_hi:[0,1]
	v_pk_add_f32 v[34:35], v[34:35], v[52:53] op_sel:[0,1] op_sel_hi:[1,0]
	v_pk_fma_f32 v[52:53], v[54:55], v[28:29], v[58:59] op_sel:[0,0,1] op_sel_hi:[1,1,0] neg_lo:[0,0,1] neg_hi:[0,0,1]
	v_pk_fma_f32 v[54:55], v[54:55], v[28:29], v[58:59] op_sel:[0,0,1] op_sel_hi:[1,0,0]
	v_pk_mul_f32 v[58:59], v[56:57], v[32:33] op_sel_hi:[1,0]
	v_pk_add_f32 v[66:67], v[36:37], v[48:49] op_sel:[0,1] op_sel_hi:[1,0] neg_lo:[0,1] neg_hi:[0,1]
	v_pk_add_f32 v[36:37], v[36:37], v[48:49] op_sel:[0,1] op_sel_hi:[1,0]
	v_mov_b32_e32 v53, v55
	v_pk_fma_f32 v[48:49], v[56:57], v[30:31], v[58:59] op_sel:[0,0,1] op_sel_hi:[1,1,0] neg_lo:[0,0,1] neg_hi:[0,0,1]
	v_pk_fma_f32 v[54:55], v[56:57], v[30:31], v[58:59] op_sel:[0,0,1] op_sel_hi:[1,0,0]
	v_mov_b32_e32 v56, v34
	v_mov_b32_e32 v57, v65
	;; [unrolled: 1-line block ×7, first 2 shown]
	ds_write2_b64 v70, v[40:41], v[56:57] offset1:176
	ds_write2_b64 v96, v[64:65], v[50:51] offset0:32 offset1:208
	ds_write2_b64 v107, v[34:35], v[66:67] offset0:64 offset1:240
	v_pk_add_f32 v[36:37], v[52:53], v[48:49]
	v_pk_add_f32 v[40:41], v[52:53], v[48:49] neg_lo:[0,1] neg_hi:[0,1]
	v_pk_add_f32 v[34:35], v[38:39], v[52:53]
	v_pk_fma_f32 v[36:37], v[36:37], 0.5, v[38:39] op_sel_hi:[1,0,1] neg_lo:[1,0,0] neg_hi:[1,0,0]
	v_pk_mul_f32 v[38:39], v[40:41], s[14:15] op_sel_hi:[1,0]
	v_pk_add_f32 v[34:35], v[34:35], v[48:49]
	v_pk_add_f32 v[40:41], v[36:37], v[38:39] op_sel:[0,1] op_sel_hi:[1,0] neg_lo:[0,1] neg_hi:[0,1]
	v_pk_add_f32 v[36:37], v[36:37], v[38:39] op_sel:[0,1] op_sel_hi:[1,0]
	v_mov_b32_e32 v39, v41
	v_mov_b32_e32 v38, v36
	v_lshlrev_b32_e32 v32, 3, v45
	v_mov_b32_e32 v41, v37
	ds_write2_b64 v98, v[34:35], v[38:39] offset0:32 offset1:208
	ds_write_b64 v106, v[40:41] offset:11264
	s_movk_i32 s15, 0x1000
	v_lshl_add_u64 v[34:35], s[0:1], 0, v[32:33]
	v_add_co_u32_e32 v34, vcc, s15, v34
	v_lshlrev_b32_e32 v32, 4, v44
	s_nop 0
	v_addc_co_u32_e32 v35, vcc, 0, v35, vcc
	v_lshl_add_u64 v[32:33], s[0:1], 0, v[32:33]
	v_add_co_u32_e32 v32, vcc, s15, v32
	s_waitcnt lgkmcnt(0)
	s_nop 0
	v_addc_co_u32_e32 v33, vcc, 0, v33, vcc
	v_add_co_u32_e32 v40, vcc, s15, v42
	s_barrier
	s_nop 0
	v_addc_co_u32_e32 v41, vcc, 0, v43, vcc
	global_load_dwordx4 v[36:39], v[34:35], off offset:96
	s_mov_b64 s[0:1], 0x3180
	global_load_dwordx4 v[32:35], v[32:33], off offset:96
	s_waitcnt vmcnt(1)
	v_mov_b32_e32 v100, v39
	global_load_dwordx4 v[40:43], v[40:41], off offset:96
	ds_read2_b64 v[48:51], v107 offset0:64 offset1:240
	ds_read2_b64 v[52:55], v96 offset0:32 offset1:208
	ds_read_b64 v[44:45], v70 offset:11264
	ds_read2_b64 v[56:59], v70 offset1:176
	ds_read2_b64 v[64:67], v97 offset0:32 offset1:208
	s_waitcnt vmcnt(1) lgkmcnt(4)
	v_pk_mul_f32 v[68:69], v[50:51], v[32:33] op_sel:[0,1]
	v_mov_b32_e32 v96, v35
	v_pk_mul_f32 v[98:99], v[48:49], v[36:37] op_sel:[0,1]
	v_pk_fma_f32 v[110:111], v[50:51], v[32:33], v[68:69] op_sel:[0,0,1] op_sel_hi:[1,1,0] neg_lo:[0,0,1] neg_hi:[0,0,1]
	v_pk_fma_f32 v[50:51], v[50:51], v[32:33], v[68:69] op_sel:[0,0,1] op_sel_hi:[1,0,0]
	s_waitcnt lgkmcnt(2)
	v_pk_mul_f32 v[68:69], v[44:45], v[96:97] op_sel_hi:[1,0]
	v_pk_fma_f32 v[96:97], v[48:49], v[36:37], v[98:99] op_sel:[0,0,1] op_sel_hi:[1,1,0] neg_lo:[0,0,1] neg_hi:[0,0,1]
	v_pk_fma_f32 v[48:49], v[48:49], v[36:37], v[98:99] op_sel:[0,0,1] op_sel_hi:[1,0,0]
	s_waitcnt lgkmcnt(0)
	v_pk_mul_f32 v[98:99], v[66:67], v[100:101] op_sel_hi:[1,0]
	v_mov_b32_e32 v111, v51
	v_pk_fma_f32 v[50:51], v[44:45], v[34:35], v[68:69] op_sel:[0,0,1] op_sel_hi:[1,1,0] neg_lo:[0,0,1] neg_hi:[0,0,1]
	v_pk_fma_f32 v[44:45], v[44:45], v[34:35], v[68:69] op_sel:[0,0,1] op_sel_hi:[1,0,0]
	v_mov_b32_e32 v97, v49
	v_pk_fma_f32 v[48:49], v[66:67], v[38:39], v[98:99] op_sel:[0,0,1] op_sel_hi:[1,1,0] neg_lo:[0,0,1] neg_hi:[0,0,1]
	v_pk_fma_f32 v[66:67], v[66:67], v[38:39], v[98:99] op_sel:[0,0,1] op_sel_hi:[1,0,0]
	v_mov_b32_e32 v51, v45
	v_mov_b32_e32 v49, v67
	v_pk_add_f32 v[68:69], v[110:111], v[50:51]
	v_pk_add_f32 v[66:67], v[52:53], v[110:111]
	v_pk_add_f32 v[98:99], v[110:111], v[50:51] neg_lo:[0,1] neg_hi:[0,1]
	v_pk_fma_f32 v[52:53], v[68:69], 0.5, v[52:53] op_sel_hi:[1,0,1] neg_lo:[1,0,0] neg_hi:[1,0,0]
	s_waitcnt vmcnt(0)
	v_pk_mul_f32 v[102:103], v[54:55], v[40:41] op_sel:[0,1]
	v_mov_b32_e32 v104, v43
	v_pk_fma_f32 v[100:101], v[54:55], v[40:41], v[102:103] op_sel:[0,0,1] op_sel_hi:[1,1,0] neg_lo:[0,0,1] neg_hi:[0,0,1]
	v_pk_fma_f32 v[54:55], v[54:55], v[40:41], v[102:103] op_sel:[0,0,1] op_sel_hi:[1,0,0]
	v_pk_mul_f32 v[102:103], v[64:65], v[104:105] op_sel_hi:[1,0]
	v_mov_b32_e32 v101, v55
	v_pk_fma_f32 v[54:55], v[64:65], v[42:43], v[102:103] op_sel:[0,0,1] op_sel_hi:[1,1,0] neg_lo:[0,0,1] neg_hi:[0,0,1]
	v_pk_fma_f32 v[64:65], v[64:65], v[42:43], v[102:103] op_sel:[0,0,1] op_sel_hi:[1,0,0]
	v_pk_add_f32 v[44:45], v[56:57], v[100:101]
	v_mov_b32_e32 v55, v65
	v_pk_add_f32 v[64:65], v[58:59], v[96:97]
	v_pk_add_f32 v[102:103], v[96:97], v[48:49]
	v_pk_add_f32 v[96:97], v[96:97], v[48:49] neg_lo:[0,1] neg_hi:[0,1]
	v_pk_add_f32 v[44:45], v[44:45], v[54:55]
	v_pk_add_f32 v[104:105], v[100:101], v[54:55]
	v_pk_add_f32 v[54:55], v[100:101], v[54:55] neg_lo:[0,1] neg_hi:[0,1]
	v_pk_fma_f32 v[58:59], v[102:103], 0.5, v[58:59] op_sel_hi:[1,0,1] neg_lo:[1,0,0] neg_hi:[1,0,0]
	v_pk_mul_f32 v[68:69], v[96:97], s[14:15] op_sel_hi:[1,0]
	v_pk_fma_f32 v[56:57], v[104:105], 0.5, v[56:57] op_sel_hi:[1,0,1] neg_lo:[1,0,0] neg_hi:[1,0,0]
	v_pk_mul_f32 v[54:55], v[54:55], s[14:15] op_sel_hi:[1,0]
	v_pk_add_f32 v[48:49], v[64:65], v[48:49]
	v_pk_mul_f32 v[64:65], v[98:99], s[14:15] op_sel_hi:[1,0]
	v_pk_add_f32 v[98:99], v[58:59], v[68:69] op_sel:[0,1] op_sel_hi:[1,0]
	v_pk_add_f32 v[58:59], v[58:59], v[68:69] op_sel:[0,1] op_sel_hi:[1,0] neg_lo:[0,1] neg_hi:[0,1]
	v_pk_add_f32 v[68:69], v[56:57], v[54:55] op_sel:[0,1] op_sel_hi:[1,0]
	v_pk_add_f32 v[54:55], v[56:57], v[54:55] op_sel:[0,1] op_sel_hi:[1,0] neg_lo:[0,1] neg_hi:[0,1]
	v_mov_b32_e32 v57, v69
	v_mov_b32_e32 v56, v54
	;; [unrolled: 1-line block ×5, first 2 shown]
	ds_write_b64 v70, v[56:57] offset:8448
	ds_write_b64 v70, v[68:69] offset:4224
	ds_write2_b64 v70, v[44:45], v[48:49] offset1:176
	ds_write_b64 v70, v[58:59] offset:9856
	v_pk_add_f32 v[44:45], v[66:67], v[50:51]
	s_movk_i32 s14, 0x3000
	v_pk_add_f32 v[96:97], v[52:53], v[64:65] op_sel:[0,1] op_sel_hi:[1,0] neg_lo:[0,1] neg_hi:[0,1]
	v_pk_add_f32 v[52:53], v[52:53], v[64:65] op_sel:[0,1] op_sel_hi:[1,0]
	ds_write_b64 v70, v[44:45] offset:2816
	v_add_co_u32_e32 v44, vcc, s14, v46
	v_mov_b32_e32 v65, v53
	v_mov_b32_e32 v54, v98
	;; [unrolled: 1-line block ×3, first 2 shown]
	v_addc_co_u32_e32 v45, vcc, 0, v47, vcc
	v_mov_b32_e32 v64, v96
	ds_write2_b64 v107, v[54:55], v[52:53] offset0:64 offset1:240
	ds_write_b64 v70, v[64:65] offset:11264
	s_waitcnt lgkmcnt(0)
	s_barrier
	global_load_dwordx2 v[52:53], v[44:45], off offset:384
	v_lshl_add_u64 v[44:45], v[46:47], 0, s[0:1]
	global_load_dwordx2 v[58:59], v[44:45], off offset:1408
	s_movk_i32 s0, 0x4000
	v_add_co_u32_e32 v48, vcc, s0, v46
	s_movk_i32 s0, 0x5000
	s_nop 0
	v_addc_co_u32_e32 v49, vcc, 0, v47, vcc
	v_add_co_u32_e32 v46, vcc, s0, v46
	global_load_dwordx2 v[96:97], v[48:49], off offset:864
	global_load_dwordx2 v[98:99], v[44:45], off offset:3168
	;; [unrolled: 1-line block ×3, first 2 shown]
	v_addc_co_u32_e32 v47, vcc, 0, v47, vcc
	global_load_dwordx2 v[102:103], v[46:47], off offset:1696
	global_load_dwordx2 v[104:105], v[46:47], off offset:3104
	;; [unrolled: 1-line block ×3, first 2 shown]
	ds_read2_b64 v[48:51], v70 offset1:176
	v_add_u32_e32 v46, 0xc00, v70
	v_add_u32_e32 v47, 0x1800, v70
	;; [unrolled: 1-line block ×3, first 2 shown]
	s_movk_i32 s14, 0x2000
	v_add_u32_e32 v57, 0x500, v70
	v_add_u32_e32 v107, 0x1100, v70
	s_waitcnt vmcnt(7) lgkmcnt(0)
	v_mul_f32_e32 v54, v49, v53
	v_mul_f32_e32 v55, v48, v53
	v_fma_f32 v54, v48, v52, -v54
	v_fmac_f32_e32 v55, v49, v52
	ds_write_b64 v70, v[54:55]
	s_waitcnt vmcnt(6)
	v_mul_f32_e32 v66, v51, v59
	v_mul_f32_e32 v113, v50, v59
	ds_read2_b64 v[52:55], v46 offset0:12 offset1:188
	v_fma_f32 v112, v50, v58, -v66
	ds_read2_b64 v[66:69], v47 offset0:24 offset1:200
	v_fmac_f32_e32 v113, v51, v58
	ds_read2_b64 v[48:51], v56 offset0:36 offset1:212
	s_waitcnt vmcnt(4) lgkmcnt(2)
	v_mul_f32_e32 v58, v53, v99
	v_mul_f32_e32 v59, v52, v99
	s_waitcnt vmcnt(3) lgkmcnt(1)
	v_mul_f32_e32 v114, v67, v101
	v_mul_f32_e32 v99, v66, v101
	;; [unrolled: 3-line block ×3, first 2 shown]
	v_mul_f32_e32 v116, v55, v97
	v_mul_f32_e32 v103, v54, v97
	s_waitcnt vmcnt(0)
	v_mul_f32_e32 v117, v69, v111
	v_mul_f32_e32 v97, v68, v111
	;; [unrolled: 1-line block ×4, first 2 shown]
	v_fma_f32 v58, v52, v98, -v58
	v_fmac_f32_e32 v59, v53, v98
	v_fma_f32 v98, v66, v100, -v114
	v_fmac_f32_e32 v99, v67, v100
	;; [unrolled: 2-line block ×6, first 2 shown]
	ds_write2_b64 v57, v[112:113], v[58:59] offset0:16 offset1:236
	ds_write2_b64 v107, v[102:103], v[98:99] offset0:28 offset1:248
	;; [unrolled: 1-line block ×3, first 2 shown]
	ds_write_b64 v70, v[110:111] offset:10912
	s_and_saveexec_b64 s[0:1], s[6:7]
	s_cbranch_execz .LBB0_21
; %bb.20:
	v_add_co_u32_e32 v50, vcc, s15, v44
	global_load_dwordx2 v[48:49], v[44:45], off offset:2816
	s_nop 0
	v_addc_co_u32_e32 v51, vcc, 0, v45, vcc
	v_add_co_u32_e32 v52, vcc, s14, v44
	global_load_dwordx2 v[50:51], v[50:51], off offset:1888
	s_nop 0
	v_addc_co_u32_e32 v53, vcc, 0, v45, vcc
	global_load_dwordx2 v[52:53], v[52:53], off offset:960
	v_add_co_u32_e32 v44, vcc, 0x3000, v44
	s_nop 1
	v_addc_co_u32_e32 v45, vcc, 0, v45, vcc
	global_load_dwordx2 v[44:45], v[44:45], off offset:32
	ds_read_b64 v[54:55], v70 offset:2816
	ds_read_b64 v[58:59], v70 offset:5984
	;; [unrolled: 1-line block ×4, first 2 shown]
	s_waitcnt vmcnt(3) lgkmcnt(3)
	v_mul_f32_e32 v57, v55, v49
	v_mul_f32_e32 v97, v54, v49
	v_fma_f32 v96, v54, v48, -v57
	v_fmac_f32_e32 v97, v55, v48
	ds_write_b64 v70, v[96:97] offset:2816
	s_waitcnt vmcnt(2) lgkmcnt(3)
	v_mul_f32_e32 v48, v59, v51
	v_mul_f32_e32 v49, v58, v51
	v_fma_f32 v48, v58, v50, -v48
	v_fmac_f32_e32 v49, v59, v50
	s_waitcnt vmcnt(1) lgkmcnt(2)
	v_mul_f32_e32 v50, v67, v53
	v_mul_f32_e32 v51, v66, v53
	ds_write_b64 v70, v[48:49] offset:5984
	v_fma_f32 v50, v66, v52, -v50
	v_fmac_f32_e32 v51, v67, v52
	s_waitcnt vmcnt(0) lgkmcnt(2)
	v_mul_f32_e32 v48, v69, v45
	v_mul_f32_e32 v49, v68, v45
	v_fma_f32 v48, v68, v44, -v48
	v_fmac_f32_e32 v49, v69, v44
	ds_write_b64 v70, v[50:51] offset:9152
	ds_write_b64 v70, v[48:49] offset:12320
.LBB0_21:
	s_or_b64 exec, exec, s[0:1]
	s_waitcnt lgkmcnt(0)
	s_barrier
	ds_read2_b64 v[48:51], v70 offset1:176
	ds_read2_b64 v[52:55], v46 offset0:12 offset1:188
	ds_read2_b64 v[44:47], v47 offset0:24 offset1:200
	;; [unrolled: 1-line block ×3, first 2 shown]
	s_and_saveexec_b64 s[0:1], s[6:7]
	s_cbranch_execz .LBB0_23
; %bb.22:
	ds_read_b64 v[64:65], v70 offset:2816
	ds_read_b64 v[60:61], v70 offset:5984
	;; [unrolled: 1-line block ×4, first 2 shown]
.LBB0_23:
	s_or_b64 exec, exec, s[0:1]
	s_waitcnt lgkmcnt(0)
	v_pk_add_f32 v[68:69], v[52:53], v[56:57] neg_lo:[0,1] neg_hi:[0,1]
	v_pk_add_f32 v[56:57], v[64:65], v[8:9] neg_lo:[0,1] neg_hi:[0,1]
	;; [unrolled: 1-line block ×5, first 2 shown]
	v_pk_fma_f32 v[44:45], v[60:61], 2.0, v[10:11] op_sel_hi:[1,0,1] neg_lo:[0,0,1] neg_hi:[0,0,1]
	v_pk_add_f32 v[46:47], v[56:57], v[10:11] op_sel:[0,1] op_sel_hi:[1,0]
	v_pk_add_f32 v[10:11], v[56:57], v[10:11] op_sel:[0,1] op_sel_hi:[1,0] neg_lo:[0,1] neg_hi:[0,1]
	v_pk_fma_f32 v[48:49], v[48:49], 2.0, v[66:67] op_sel_hi:[1,0,1] neg_lo:[0,0,1] neg_hi:[0,0,1]
	v_mov_b32_e32 v47, v11
	v_pk_fma_f32 v[52:53], v[52:53], 2.0, v[68:69] op_sel_hi:[1,0,1] neg_lo:[0,0,1] neg_hi:[0,0,1]
	v_pk_fma_f32 v[8:9], v[64:65], 2.0, v[56:57] op_sel_hi:[1,0,1] neg_lo:[0,0,1] neg_hi:[0,0,1]
	;; [unrolled: 1-line block ×3, first 2 shown]
	v_pk_add_f32 v[56:57], v[48:49], v[52:53] neg_lo:[0,1] neg_hi:[0,1]
	v_pk_add_f32 v[98:99], v[54:55], v[58:59] neg_lo:[0,1] neg_hi:[0,1]
	v_pk_fma_f32 v[64:65], v[48:49], 2.0, v[56:57] op_sel_hi:[1,0,1] neg_lo:[0,0,1] neg_hi:[0,0,1]
	v_pk_add_f32 v[58:59], v[66:67], v[68:69] op_sel:[0,1] op_sel_hi:[1,0]
	v_pk_add_f32 v[48:49], v[66:67], v[68:69] op_sel:[0,1] op_sel_hi:[1,0] neg_lo:[0,1] neg_hi:[0,1]
	v_pk_fma_f32 v[50:51], v[50:51], 2.0, v[96:97] op_sel_hi:[1,0,1] neg_lo:[0,0,1] neg_hi:[0,0,1]
	v_mov_b32_e32 v59, v49
	v_pk_fma_f32 v[48:49], v[54:55], 2.0, v[98:99] op_sel_hi:[1,0,1] neg_lo:[0,0,1] neg_hi:[0,0,1]
	v_pk_fma_f32 v[66:67], v[66:67], 2.0, v[58:59] op_sel_hi:[1,0,1] neg_lo:[0,0,1] neg_hi:[0,0,1]
	v_pk_add_f32 v[48:49], v[50:51], v[48:49] neg_lo:[0,1] neg_hi:[0,1]
	s_barrier
	ds_write_b128 v81, v[64:67]
	ds_write_b128 v81, v[56:59] offset:16
	v_pk_fma_f32 v[52:53], v[50:51], 2.0, v[48:49] op_sel_hi:[1,0,1] neg_lo:[0,0,1] neg_hi:[0,0,1]
	v_pk_add_f32 v[50:51], v[96:97], v[98:99] op_sel:[0,1] op_sel_hi:[1,0]
	v_pk_add_f32 v[56:57], v[96:97], v[98:99] op_sel:[0,1] op_sel_hi:[1,0] neg_lo:[0,1] neg_hi:[0,1]
	v_pk_add_f32 v[44:45], v[8:9], v[44:45] neg_lo:[0,1] neg_hi:[0,1]
	v_mov_b32_e32 v51, v57
	v_pk_fma_f32 v[8:9], v[8:9], 2.0, v[44:45] op_sel_hi:[1,0,1] neg_lo:[0,0,1] neg_hi:[0,0,1]
	v_pk_fma_f32 v[54:55], v[96:97], 2.0, v[50:51] op_sel_hi:[1,0,1] neg_lo:[0,0,1] neg_hi:[0,0,1]
	ds_write_b128 v144, v[52:55]
	ds_write_b128 v144, v[48:51] offset:16
	s_and_saveexec_b64 s[0:1], s[6:7]
	s_cbranch_execz .LBB0_25
; %bb.24:
	ds_write_b128 v145, v[8:11]
	ds_write_b128 v145, v[44:47] offset:16
.LBB0_25:
	s_or_b64 exec, exec, s[0:1]
	v_add_u32_e32 v46, 0x1800, v70
	s_waitcnt lgkmcnt(0)
	s_barrier
	ds_read2_b64 v[58:61], v46 offset0:24 offset1:200
	v_add_u32_e32 v46, 0xa00, v70
	v_add_u32_e32 v50, 0x2200, v70
	ds_read2_b64 v[54:57], v70 offset1:176
	ds_read2_b64 v[46:49], v46 offset0:32 offset1:208
	ds_read2_b64 v[50:53], v50 offset0:56 offset1:232
	v_mov_b32_e32 v64, v62
	v_mov_b32_e32 v65, v62
	;; [unrolled: 1-line block ×4, first 2 shown]
	s_and_saveexec_b64 s[0:1], s[2:3]
	s_cbranch_execz .LBB0_27
; %bb.26:
	ds_read_b64 v[8:9], v70 offset:5632
	ds_read_b64 v[10:11], v70 offset:11968
.LBB0_27:
	s_or_b64 exec, exec, s[0:1]
	s_waitcnt lgkmcnt(0)
	v_pk_mul_f32 v[68:69], v[62:63], v[10:11] op_sel:[0,1]
	s_nop 0
	v_pk_fma_f32 v[96:97], v[62:63], v[10:11], v[68:69] op_sel:[0,0,1] op_sel_hi:[1,1,0]
	v_pk_fma_f32 v[10:11], v[62:63], v[10:11], v[68:69] op_sel:[0,0,1] op_sel_hi:[1,0,0] neg_lo:[1,0,0] neg_hi:[1,0,0]
	s_barrier
	v_mov_b32_e32 v97, v11
	v_pk_mul_f32 v[10:11], v[66:67], v[58:59]
	s_nop 0
	v_pk_fma_f32 v[62:63], v[64:65], v[58:59], v[10:11] op_sel:[0,0,1] op_sel_hi:[1,1,0]
	v_pk_fma_f32 v[10:11], v[64:65], v[58:59], v[10:11] op_sel:[0,0,1] op_sel_hi:[1,1,0] neg_lo:[0,0,1] neg_hi:[0,0,1]
	v_pk_add_f32 v[96:97], v[8:9], v[96:97] neg_lo:[0,1] neg_hi:[0,1]
	v_mov_b32_e32 v63, v11
	v_pk_add_f32 v[10:11], v[54:55], v[62:63] neg_lo:[0,1] neg_hi:[0,1]
	v_pk_fma_f32 v[8:9], v[8:9], 2.0, v[96:97] op_sel_hi:[1,0,1] neg_lo:[0,0,1] neg_hi:[0,0,1]
	v_pk_fma_f32 v[54:55], v[54:55], 2.0, v[10:11] op_sel_hi:[1,0,1] neg_lo:[0,0,1] neg_hi:[0,0,1]
	ds_write2_b64 v151, v[54:55], v[10:11] offset1:4
	v_pk_mul_f32 v[10:11], v[66:67], v[60:61]
	s_nop 0
	v_pk_fma_f32 v[54:55], v[64:65], v[60:61], v[10:11] op_sel:[0,0,1] op_sel_hi:[1,1,0]
	v_pk_fma_f32 v[10:11], v[64:65], v[60:61], v[10:11] op_sel:[0,0,1] op_sel_hi:[1,1,0] neg_lo:[0,0,1] neg_hi:[0,0,1]
	s_nop 0
	v_mov_b32_e32 v55, v11
	v_pk_add_f32 v[10:11], v[56:57], v[54:55] neg_lo:[0,1] neg_hi:[0,1]
	s_nop 0
	v_pk_fma_f32 v[54:55], v[56:57], 2.0, v[10:11] op_sel_hi:[1,0,1] neg_lo:[0,0,1] neg_hi:[0,0,1]
	ds_write2_b64 v150, v[54:55], v[10:11] offset1:4
	v_pk_mul_f32 v[10:11], v[66:67], v[50:51]
	s_nop 0
	v_pk_fma_f32 v[54:55], v[64:65], v[50:51], v[10:11] op_sel:[0,0,1] op_sel_hi:[1,1,0]
	v_pk_fma_f32 v[10:11], v[64:65], v[50:51], v[10:11] op_sel:[0,0,1] op_sel_hi:[1,1,0] neg_lo:[0,0,1] neg_hi:[0,0,1]
	s_nop 0
	v_mov_b32_e32 v55, v11
	v_pk_add_f32 v[10:11], v[46:47], v[54:55] neg_lo:[0,1] neg_hi:[0,1]
	s_nop 0
	;; [unrolled: 10-line block ×3, first 2 shown]
	v_pk_fma_f32 v[46:47], v[48:49], 2.0, v[10:11] op_sel_hi:[1,0,1] neg_lo:[0,0,1] neg_hi:[0,0,1]
	ds_write2_b64 v148, v[46:47], v[10:11] offset1:4
	s_and_saveexec_b64 s[0:1], s[2:3]
	s_cbranch_execz .LBB0_29
; %bb.28:
	s_movk_i32 s14, 0x7f8
	v_and_or_b32 v10, v75, s14, v71
	v_lshlrev_b32_e32 v10, 3, v10
	ds_write2_b64 v10, v[8:9], v[96:97] offset1:4
.LBB0_29:
	s_or_b64 exec, exec, s[0:1]
	v_add_u32_e32 v10, 0x1800, v70
	s_waitcnt lgkmcnt(0)
	s_barrier
	ds_read2_b64 v[46:49], v10 offset0:24 offset1:200
	v_add_u32_e32 v10, 0xa00, v70
	ds_read2_b64 v[56:59], v10 offset0:32 offset1:208
	v_add_u32_e32 v10, 0x2200, v70
	ds_read2_b64 v[62:65], v70 offset1:176
	ds_read2_b64 v[66:69], v10 offset0:56 offset1:232
	v_mov_b32_e32 v54, v94
	v_mov_b32_e32 v55, v94
	;; [unrolled: 1-line block ×4, first 2 shown]
	s_and_saveexec_b64 s[0:1], s[2:3]
	s_cbranch_execz .LBB0_31
; %bb.30:
	ds_read_b64 v[8:9], v70 offset:5632
	ds_read_b64 v[96:97], v70 offset:11968
.LBB0_31:
	s_or_b64 exec, exec, s[0:1]
	s_waitcnt lgkmcnt(3)
	v_pk_mul_f32 v[10:11], v[60:61], v[46:47]
	s_waitcnt lgkmcnt(0)
	v_pk_mul_f32 v[98:99], v[60:61], v[68:69]
	v_pk_fma_f32 v[50:51], v[54:55], v[46:47], v[10:11] op_sel:[0,0,1] op_sel_hi:[1,1,0]
	v_pk_fma_f32 v[10:11], v[54:55], v[46:47], v[10:11] op_sel:[0,0,1] op_sel_hi:[1,1,0] neg_lo:[0,0,1] neg_hi:[0,0,1]
	v_pk_mul_f32 v[46:47], v[60:61], v[48:49]
	v_mov_b32_e32 v51, v11
	v_pk_add_f32 v[10:11], v[62:63], v[50:51] neg_lo:[0,1] neg_hi:[0,1]
	v_pk_fma_f32 v[50:51], v[54:55], v[48:49], v[46:47] op_sel:[0,0,1] op_sel_hi:[1,1,0]
	v_pk_fma_f32 v[46:47], v[54:55], v[48:49], v[46:47] op_sel:[0,0,1] op_sel_hi:[1,1,0] neg_lo:[0,0,1] neg_hi:[0,0,1]
	v_pk_mul_f32 v[100:101], v[94:95], v[96:97] op_sel:[0,1]
	v_mov_b32_e32 v51, v47
	v_pk_mul_f32 v[46:47], v[60:61], v[66:67]
	v_pk_fma_f32 v[60:61], v[94:95], v[96:97], v[100:101] op_sel:[0,0,1] op_sel_hi:[1,0,0] neg_lo:[1,0,0] neg_hi:[1,0,0]
	v_pk_fma_f32 v[48:49], v[54:55], v[66:67], v[46:47] op_sel:[0,0,1] op_sel_hi:[1,1,0]
	v_pk_fma_f32 v[46:47], v[54:55], v[66:67], v[46:47] op_sel:[0,0,1] op_sel_hi:[1,1,0] neg_lo:[0,0,1] neg_hi:[0,0,1]
	v_pk_add_f32 v[52:53], v[64:65], v[50:51] neg_lo:[0,1] neg_hi:[0,1]
	v_mov_b32_e32 v49, v47
	v_pk_add_f32 v[48:49], v[56:57], v[48:49] neg_lo:[0,1] neg_hi:[0,1]
	v_pk_fma_f32 v[50:51], v[64:65], 2.0, v[52:53] op_sel_hi:[1,0,1] neg_lo:[0,0,1] neg_hi:[0,0,1]
	v_pk_fma_f32 v[46:47], v[56:57], 2.0, v[48:49] op_sel_hi:[1,0,1] neg_lo:[0,0,1] neg_hi:[0,0,1]
	v_pk_fma_f32 v[56:57], v[54:55], v[68:69], v[98:99] op_sel:[0,0,1] op_sel_hi:[1,1,0]
	v_pk_fma_f32 v[54:55], v[54:55], v[68:69], v[98:99] op_sel:[0,0,1] op_sel_hi:[1,1,0] neg_lo:[0,0,1] neg_hi:[0,0,1]
	s_nop 0
	v_mov_b32_e32 v57, v55
	v_pk_add_f32 v[56:57], v[58:59], v[56:57] neg_lo:[0,1] neg_hi:[0,1]
	s_barrier
	v_pk_fma_f32 v[54:55], v[58:59], 2.0, v[56:57] op_sel_hi:[1,0,1] neg_lo:[0,0,1] neg_hi:[0,0,1]
	v_pk_fma_f32 v[58:59], v[94:95], v[96:97], v[100:101] op_sel:[0,0,1] op_sel_hi:[1,1,0]
	s_nop 0
	v_mov_b32_e32 v59, v61
	v_pk_add_f32 v[60:61], v[8:9], v[58:59] neg_lo:[0,1] neg_hi:[0,1]
	s_nop 0
	v_pk_fma_f32 v[58:59], v[8:9], 2.0, v[60:61] op_sel_hi:[1,0,1] neg_lo:[0,0,1] neg_hi:[0,0,1]
	v_pk_fma_f32 v[8:9], v[62:63], 2.0, v[10:11] op_sel_hi:[1,0,1] neg_lo:[0,0,1] neg_hi:[0,0,1]
	ds_write2_b64 v152, v[8:9], v[10:11] offset1:8
	ds_write2_b64 v153, v[50:51], v[52:53] offset1:8
	;; [unrolled: 1-line block ×4, first 2 shown]
	s_and_saveexec_b64 s[0:1], s[2:3]
	s_cbranch_execz .LBB0_33
; %bb.32:
	s_movk_i32 s2, 0x7f0
	v_and_or_b32 v62, v75, s2, v146
	v_lshlrev_b32_e32 v62, 3, v62
	ds_write2_b64 v62, v[58:59], v[60:61] offset1:8
.LBB0_33:
	s_or_b64 exec, exec, s[0:1]
	s_waitcnt lgkmcnt(0)
	s_barrier
	s_and_saveexec_b64 s[0:1], s[4:5]
	s_cbranch_execz .LBB0_35
; %bb.34:
	v_add_u32_e32 v44, 0x800, v70
	ds_read2_b64 v[50:53], v44 offset0:32 offset1:176
	v_add_u32_e32 v44, 0x1000, v70
	ds_read2_b64 v[46:49], v44 offset0:64 offset1:208
	;; [unrolled: 2-line block ×3, first 2 shown]
	v_add_u32_e32 v44, 0x2400, v70
	ds_read2_b64 v[8:11], v70 offset1:144
	ds_read2_b64 v[58:61], v44 offset1:144
	ds_read_b64 v[44:45], v70 offset:11520
.LBB0_35:
	s_or_b64 exec, exec, s[0:1]
	v_mov_b32_e32 v100, v24
	v_mov_b32_e32 v101, v24
	;; [unrolled: 1-line block ×30, first 2 shown]
	s_waitcnt lgkmcnt(0)
	s_barrier
	s_and_saveexec_b64 s[0:1], s[4:5]
	s_cbranch_execz .LBB0_37
; %bb.36:
	v_pk_mul_f32 v[112:113], v[22:23], v[44:45] op_sel:[0,1]
	v_pk_mul_f32 v[116:117], v[20:21], v[60:61] op_sel:[0,1]
	v_mul_u32_u24_e32 v71, 0xb0, v109
	v_pk_fma_f32 v[108:109], v[22:23], v[44:45], v[112:113] op_sel:[0,0,1] op_sel_hi:[1,1,0]
	v_pk_fma_f32 v[22:23], v[22:23], v[44:45], v[112:113] op_sel:[0,0,1] op_sel_hi:[1,0,0] neg_lo:[1,0,0] neg_hi:[1,0,0]
	v_pk_mul_f32 v[114:115], v[2:3], v[50:51] op_sel:[0,1]
	v_mov_b32_e32 v109, v23
	v_pk_fma_f32 v[22:23], v[20:21], v[60:61], v[116:117] op_sel:[0,0,1] op_sel_hi:[1,1,0]
	v_pk_fma_f32 v[20:21], v[20:21], v[60:61], v[116:117] op_sel:[0,0,1] op_sel_hi:[1,0,0] neg_lo:[1,0,0] neg_hi:[1,0,0]
	v_pk_mul_f32 v[120:121], v[14:15], v[58:59] op_sel:[0,1]
	v_mov_b32_e32 v23, v21
	;; [unrolled: 4-line block ×8, first 2 shown]
	v_pk_fma_f32 v[18:19], v[16:17], v[48:49], v[126:127] op_sel:[0,0,1] op_sel_hi:[1,1,0]
	v_pk_fma_f32 v[16:17], v[16:17], v[48:49], v[126:127] op_sel:[0,0,1] op_sel_hi:[1,0,0] neg_lo:[1,0,0] neg_hi:[1,0,0]
	s_mov_b32 s14, 0x3f575c64
	v_mov_b32_e32 v19, v17
	v_pk_fma_f32 v[16:17], v[0:1], v[10:11], v[110:111] op_sel:[0,0,1] op_sel_hi:[1,1,0]
	v_pk_fma_f32 v[0:1], v[0:1], v[10:11], v[110:111] op_sel:[0,0,1] op_sel_hi:[1,0,0] neg_lo:[1,0,0] neg_hi:[1,0,0]
	v_pk_add_f32 v[48:49], v[20:21], v[22:23] neg_lo:[0,1] neg_hi:[0,1]
	v_mov_b32_e32 v17, v1
	v_pk_add_f32 v[10:11], v[16:17], v[108:109] neg_lo:[0,1] neg_hi:[0,1]
	v_pk_add_f32 v[0:1], v[108:109], v[16:17]
	v_pk_mul_f32 v[44:45], v[10:11], s[20:21] op_sel_hi:[1,0]
	s_mov_b32 s28, 0xbf68dda4
	v_pk_add_f32 v[46:47], v[22:23], v[20:21]
	s_mov_b32 s2, 0x3ed4b147
	v_pk_mul_f32 v[50:51], v[48:49], s[28:29] op_sel_hi:[1,0]
	v_pk_fma_f32 v[118:119], v[0:1], s[14:15], v[44:45] op_sel:[0,0,1] op_sel_hi:[1,0,0]
	v_pk_fma_f32 v[44:45], v[0:1], s[14:15], v[44:45] op_sel:[0,0,1] op_sel_hi:[1,0,0] neg_lo:[0,0,1] neg_hi:[0,0,1]
	v_pk_add_f32 v[16:17], v[8:9], v[16:17]
	v_pk_add_f32 v[54:55], v[14:15], v[2:3] neg_lo:[0,1] neg_hi:[0,1]
	s_mov_b32 s18, 0xbf7d64f0
	v_mov_b32_e32 v120, v118
	v_mov_b32_e32 v121, v45
	v_pk_fma_f32 v[122:123], v[46:47], s[2:3], v[50:51] op_sel:[0,0,1] op_sel_hi:[1,0,0]
	v_pk_fma_f32 v[50:51], v[46:47], s[2:3], v[50:51] op_sel:[0,0,1] op_sel_hi:[1,0,0] neg_lo:[0,0,1] neg_hi:[0,0,1]
	v_pk_add_f32 v[16:17], v[20:21], v[16:17]
	v_pk_add_f32 v[52:53], v[2:3], v[14:15]
	s_mov_b32 s4, 0xbe11bafb
	v_pk_mul_f32 v[56:57], v[54:55], s[18:19] op_sel_hi:[1,0]
	v_pk_add_f32 v[120:121], v[8:9], v[120:121]
	v_mov_b32_e32 v124, v122
	v_mov_b32_e32 v125, v51
	v_pk_add_f32 v[14:15], v[14:15], v[16:17]
	v_pk_add_f32 v[58:59], v[4:5], v[12:13]
	v_pk_add_f32 v[60:61], v[12:13], v[4:5] neg_lo:[0,1] neg_hi:[0,1]
	v_pk_add_f32 v[120:121], v[124:125], v[120:121]
	v_pk_fma_f32 v[124:125], v[52:53], s[4:5], v[56:57] op_sel:[0,0,1] op_sel_hi:[1,0,0]
	v_pk_fma_f32 v[56:57], v[52:53], s[4:5], v[56:57] op_sel:[0,0,1] op_sel_hi:[1,0,0] neg_lo:[0,0,1] neg_hi:[0,0,1]
	v_pk_add_f32 v[12:13], v[12:13], v[14:15]
	s_mov_b32 s16, 0xbf27a4f4
	v_pk_mul_f32 v[110:111], v[60:61], s[22:23] op_sel_hi:[1,0]
	v_mov_b32_e32 v126, v124
	v_mov_b32_e32 v127, v57
	v_pk_add_f32 v[12:13], v[18:19], v[12:13]
	v_pk_add_f32 v[112:113], v[6:7], v[18:19]
	v_pk_add_f32 v[114:115], v[18:19], v[6:7] neg_lo:[0,1] neg_hi:[0,1]
	s_mov_b32 s26, 0xbe903f40
	v_pk_add_f32 v[120:121], v[126:127], v[120:121]
	v_pk_fma_f32 v[126:127], v[58:59], s[16:17], v[110:111] op_sel:[0,0,1] op_sel_hi:[1,0,0]
	v_pk_fma_f32 v[110:111], v[58:59], s[16:17], v[110:111] op_sel:[0,0,1] op_sel_hi:[1,0,0] neg_lo:[0,0,1] neg_hi:[0,0,1]
	v_pk_add_f32 v[6:7], v[6:7], v[12:13]
	s_mov_b32 s24, 0xbf75a155
	v_pk_mul_f32 v[116:117], v[114:115], s[26:27] op_sel_hi:[1,0]
	v_mov_b32_e32 v128, v126
	v_mov_b32_e32 v129, v111
	v_pk_add_f32 v[4:5], v[4:5], v[6:7]
	v_pk_add_f32 v[120:121], v[128:129], v[120:121]
	v_pk_fma_f32 v[128:129], v[112:113], s[24:25], v[116:117] op_sel:[0,0,1] op_sel_hi:[1,0,0]
	v_pk_fma_f32 v[116:117], v[112:113], s[24:25], v[116:117] op_sel:[0,0,1] op_sel_hi:[1,0,0] neg_lo:[0,0,1] neg_hi:[0,0,1]
	v_pk_add_f32 v[2:3], v[2:3], v[4:5]
	v_or_b32_e32 v71, v71, v147
	v_mov_b32_e32 v130, v128
	v_mov_b32_e32 v131, v117
	v_pk_add_f32 v[2:3], v[22:23], v[2:3]
	v_lshlrev_b32_e32 v71, 3, v71
	v_pk_add_f32 v[120:121], v[130:131], v[120:121]
	v_pk_add_f32 v[2:3], v[108:109], v[2:3]
	ds_write2_b64 v71, v[2:3], v[120:121] offset1:16
	v_pk_mul_f32 v[2:3], v[10:11], s[28:29] op_sel_hi:[1,0]
	v_pk_mul_f32 v[4:5], v[48:49], s[22:23] op_sel_hi:[1,0]
	v_pk_fma_f32 v[16:17], v[0:1], s[2:3], v[2:3] op_sel:[0,0,1] op_sel_hi:[1,0,0]
	v_pk_fma_f32 v[2:3], v[0:1], s[2:3], v[2:3] op_sel:[0,0,1] op_sel_hi:[1,0,0] neg_lo:[0,0,1] neg_hi:[0,0,1]
	s_mov_b32 s28, 0x3e903f40
	v_mov_b32_e32 v18, v16
	v_mov_b32_e32 v19, v3
	v_pk_fma_f32 v[20:21], v[46:47], s[16:17], v[4:5] op_sel:[0,0,1] op_sel_hi:[1,0,0]
	v_pk_fma_f32 v[4:5], v[46:47], s[16:17], v[4:5] op_sel:[0,0,1] op_sel_hi:[1,0,0] neg_lo:[0,0,1] neg_hi:[0,0,1]
	v_pk_mul_f32 v[6:7], v[54:55], s[28:29] op_sel_hi:[1,0]
	v_pk_add_f32 v[18:19], v[8:9], v[18:19]
	v_mov_b32_e32 v22, v20
	v_mov_b32_e32 v23, v5
	s_mov_b32 s30, 0x3f7d64f0
	v_pk_add_f32 v[18:19], v[22:23], v[18:19]
	v_pk_fma_f32 v[22:23], v[52:53], s[24:25], v[6:7] op_sel:[0,0,1] op_sel_hi:[1,0,0]
	v_pk_fma_f32 v[6:7], v[52:53], s[24:25], v[6:7] op_sel:[0,0,1] op_sel_hi:[1,0,0] neg_lo:[0,0,1] neg_hi:[0,0,1]
	v_pk_mul_f32 v[12:13], v[60:61], s[30:31] op_sel_hi:[1,0]
	v_mov_b32_e32 v108, v22
	v_mov_b32_e32 v109, v7
	s_mov_b32 s34, 0x3f0a6770
	v_pk_add_f32 v[18:19], v[108:109], v[18:19]
	v_pk_fma_f32 v[108:109], v[58:59], s[4:5], v[12:13] op_sel:[0,0,1] op_sel_hi:[1,0,0]
	v_pk_fma_f32 v[12:13], v[58:59], s[4:5], v[12:13] op_sel:[0,0,1] op_sel_hi:[1,0,0] neg_lo:[0,0,1] neg_hi:[0,0,1]
	v_pk_mul_f32 v[14:15], v[114:115], s[34:35] op_sel_hi:[1,0]
	v_mov_b32_e32 v120, v108
	v_mov_b32_e32 v121, v13
	v_pk_add_f32 v[18:19], v[120:121], v[18:19]
	v_pk_fma_f32 v[120:121], v[112:113], s[14:15], v[14:15] op_sel:[0,0,1] op_sel_hi:[1,0,0]
	v_pk_fma_f32 v[14:15], v[112:113], s[14:15], v[14:15] op_sel:[0,0,1] op_sel_hi:[1,0,0] neg_lo:[0,0,1] neg_hi:[0,0,1]
	v_mov_b32_e32 v130, v120
	v_mov_b32_e32 v131, v15
	v_pk_add_f32 v[18:19], v[130:131], v[18:19]
	v_pk_mul_f32 v[130:131], v[10:11], s[18:19] op_sel_hi:[1,0]
	v_pk_mul_f32 v[132:133], v[48:49], s[28:29] op_sel_hi:[1,0]
	v_pk_fma_f32 v[140:141], v[0:1], s[4:5], v[130:131] op_sel:[0,0,1] op_sel_hi:[1,0,0]
	v_pk_fma_f32 v[130:131], v[0:1], s[4:5], v[130:131] op_sel:[0,0,1] op_sel_hi:[1,0,0] neg_lo:[0,0,1] neg_hi:[0,0,1]
	s_mov_b32 s28, 0x3f68dda4
	v_mov_b32_e32 v142, v140
	v_mov_b32_e32 v143, v131
	v_pk_fma_f32 v[144:145], v[46:47], s[24:25], v[132:133] op_sel:[0,0,1] op_sel_hi:[1,0,0]
	v_pk_fma_f32 v[132:133], v[46:47], s[24:25], v[132:133] op_sel:[0,0,1] op_sel_hi:[1,0,0] neg_lo:[0,0,1] neg_hi:[0,0,1]
	v_pk_mul_f32 v[134:135], v[54:55], s[28:29] op_sel_hi:[1,0]
	v_pk_add_f32 v[142:143], v[8:9], v[142:143]
	v_mov_b32_e32 v146, v144
	v_mov_b32_e32 v147, v133
	v_pk_add_f32 v[142:143], v[146:147], v[142:143]
	v_pk_fma_f32 v[146:147], v[52:53], s[2:3], v[134:135] op_sel:[0,0,1] op_sel_hi:[1,0,0]
	v_pk_fma_f32 v[134:135], v[52:53], s[2:3], v[134:135] op_sel:[0,0,1] op_sel_hi:[1,0,0] neg_lo:[0,0,1] neg_hi:[0,0,1]
	v_pk_mul_f32 v[136:137], v[60:61], s[20:21] op_sel_hi:[1,0]
	v_mov_b32_e32 v148, v146
	v_mov_b32_e32 v149, v135
	v_pk_add_f32 v[142:143], v[148:149], v[142:143]
	v_pk_fma_f32 v[148:149], v[58:59], s[14:15], v[136:137] op_sel:[0,0,1] op_sel_hi:[1,0,0]
	v_pk_fma_f32 v[136:137], v[58:59], s[14:15], v[136:137] op_sel:[0,0,1] op_sel_hi:[1,0,0] neg_lo:[0,0,1] neg_hi:[0,0,1]
	v_pk_mul_f32 v[138:139], v[114:115], s[22:23] op_sel_hi:[1,0]
	v_mov_b32_e32 v150, v148
	v_mov_b32_e32 v151, v137
	v_pk_add_f32 v[142:143], v[150:151], v[142:143]
	v_pk_fma_f32 v[150:151], v[112:113], s[16:17], v[138:139] op_sel:[0,0,1] op_sel_hi:[1,0,0]
	v_pk_fma_f32 v[138:139], v[112:113], s[16:17], v[138:139] op_sel:[0,0,1] op_sel_hi:[1,0,0] neg_lo:[0,0,1] neg_hi:[0,0,1]
	v_mov_b32_e32 v152, v150
	v_mov_b32_e32 v153, v139
	v_pk_add_f32 v[142:143], v[152:153], v[142:143]
	ds_write2_b64 v71, v[18:19], v[142:143] offset0:32 offset1:48
	v_pk_mul_f32 v[18:19], v[10:11], s[22:23] op_sel_hi:[1,0]
	v_pk_mul_f32 v[154:155], v[48:49], s[30:31] op_sel_hi:[1,0]
	v_pk_fma_f32 v[142:143], v[0:1], s[16:17], v[18:19] op_sel:[0,0,1] op_sel_hi:[1,0,0]
	v_pk_fma_f32 v[18:19], v[0:1], s[16:17], v[18:19] op_sel:[0,0,1] op_sel_hi:[1,0,0] neg_lo:[0,0,1] neg_hi:[0,0,1]
	v_mov_b32_e32 v152, v142
	v_mov_b32_e32 v153, v19
	v_pk_fma_f32 v[156:157], v[46:47], s[4:5], v[154:155] op_sel:[0,0,1] op_sel_hi:[1,0,0]
	v_pk_fma_f32 v[154:155], v[46:47], s[4:5], v[154:155] op_sel:[0,0,1] op_sel_hi:[1,0,0] neg_lo:[0,0,1] neg_hi:[0,0,1]
	v_pk_add_f32 v[152:153], v[8:9], v[152:153]
	v_mov_b32_e32 v158, v156
	v_mov_b32_e32 v159, v155
	v_pk_add_f32 v[152:153], v[158:159], v[152:153]
	v_pk_mul_f32 v[158:159], v[54:55], s[20:21] op_sel_hi:[1,0]
	v_pk_mul_f32 v[10:11], v[10:11], s[26:27] op_sel_hi:[1,0]
	v_pk_fma_f32 v[160:161], v[52:53], s[14:15], v[158:159] op_sel:[0,0,1] op_sel_hi:[1,0,0]
	v_pk_fma_f32 v[158:159], v[52:53], s[14:15], v[158:159] op_sel:[0,0,1] op_sel_hi:[1,0,0] neg_lo:[0,0,1] neg_hi:[0,0,1]
	v_mov_b32_e32 v162, v160
	v_mov_b32_e32 v163, v159
	v_pk_add_f32 v[152:153], v[162:163], v[152:153]
	v_pk_mul_f32 v[162:163], v[60:61], s[26:27] op_sel_hi:[1,0]
	v_pk_mul_f32 v[48:49], v[48:49], s[34:35] op_sel_hi:[1,0]
	v_pk_fma_f32 v[164:165], v[58:59], s[24:25], v[162:163] op_sel:[0,0,1] op_sel_hi:[1,0,0]
	v_pk_fma_f32 v[162:163], v[58:59], s[24:25], v[162:163] op_sel:[0,0,1] op_sel_hi:[1,0,0] neg_lo:[0,0,1] neg_hi:[0,0,1]
	v_mov_b32_e32 v166, v164
	v_mov_b32_e32 v167, v163
	v_pk_add_f32 v[152:153], v[166:167], v[152:153]
	v_pk_mul_f32 v[166:167], v[114:115], s[28:29] op_sel_hi:[1,0]
	v_pk_fma_f32 v[172:173], v[46:47], s[14:15], v[48:49] op_sel:[0,0,1] op_sel_hi:[1,0,0]
	v_pk_fma_f32 v[168:169], v[112:113], s[2:3], v[166:167] op_sel:[0,0,1] op_sel_hi:[1,0,0]
	v_pk_fma_f32 v[166:167], v[112:113], s[2:3], v[166:167] op_sel:[0,0,1] op_sel_hi:[1,0,0] neg_lo:[0,0,1] neg_hi:[0,0,1]
	v_mov_b32_e32 v170, v168
	v_mov_b32_e32 v171, v167
	v_pk_add_f32 v[152:153], v[170:171], v[152:153]
	v_pk_fma_f32 v[170:171], v[0:1], s[24:25], v[10:11] op_sel:[0,0,1] op_sel_hi:[1,0,0]
	v_pk_fma_f32 v[0:1], v[0:1], s[24:25], v[10:11] op_sel:[0,0,1] op_sel_hi:[1,0,0] neg_lo:[0,0,1] neg_hi:[0,0,1]
	v_mov_b32_e32 v10, v170
	v_mov_b32_e32 v11, v1
	v_pk_fma_f32 v[46:47], v[46:47], s[14:15], v[48:49] op_sel:[0,0,1] op_sel_hi:[1,0,0] neg_lo:[0,0,1] neg_hi:[0,0,1]
	v_pk_mul_f32 v[54:55], v[54:55], s[22:23] op_sel_hi:[1,0]
	v_pk_add_f32 v[10:11], v[8:9], v[10:11]
	v_mov_b32_e32 v48, v172
	v_mov_b32_e32 v49, v47
	v_pk_add_f32 v[10:11], v[48:49], v[10:11]
	v_pk_fma_f32 v[48:49], v[52:53], s[16:17], v[54:55] op_sel:[0,0,1] op_sel_hi:[1,0,0]
	v_pk_fma_f32 v[52:53], v[52:53], s[16:17], v[54:55] op_sel:[0,0,1] op_sel_hi:[1,0,0] neg_lo:[0,0,1] neg_hi:[0,0,1]
	v_pk_mul_f32 v[60:61], v[60:61], s[28:29] op_sel_hi:[1,0]
	v_mov_b32_e32 v54, v48
	v_mov_b32_e32 v55, v53
	v_pk_add_f32 v[10:11], v[54:55], v[10:11]
	v_pk_fma_f32 v[54:55], v[58:59], s[2:3], v[60:61] op_sel:[0,0,1] op_sel_hi:[1,0,0]
	v_pk_fma_f32 v[58:59], v[58:59], s[2:3], v[60:61] op_sel:[0,0,1] op_sel_hi:[1,0,0] neg_lo:[0,0,1] neg_hi:[0,0,1]
	v_pk_mul_f32 v[114:115], v[114:115], s[18:19] op_sel_hi:[1,0]
	v_mov_b32_e32 v60, v54
	v_mov_b32_e32 v61, v59
	v_pk_add_f32 v[10:11], v[60:61], v[10:11]
	v_pk_fma_f32 v[60:61], v[112:113], s[4:5], v[114:115] op_sel:[0,0,1] op_sel_hi:[1,0,0]
	v_pk_fma_f32 v[112:113], v[112:113], s[4:5], v[114:115] op_sel:[0,0,1] op_sel_hi:[1,0,0] neg_lo:[0,0,1] neg_hi:[0,0,1]
	v_mov_b32_e32 v114, v60
	v_mov_b32_e32 v115, v113
	v_pk_add_f32 v[10:11], v[114:115], v[10:11]
	v_mov_b32_e32 v1, v171
	v_mov_b32_e32 v19, v143
	ds_write2_b64 v71, v[152:153], v[10:11] offset0:64 offset1:80
	v_pk_add_f32 v[0:1], v[8:9], v[0:1]
	v_mov_b32_e32 v47, v173
	v_pk_add_f32 v[10:11], v[8:9], v[18:19]
	v_mov_b32_e32 v155, v157
	;; [unrolled: 2-line block ×8, first 2 shown]
	v_pk_add_f32 v[0:1], v[112:113], v[0:1]
	v_pk_add_f32 v[10:11], v[166:167], v[10:11]
	v_mov_b32_e32 v131, v141
	v_mov_b32_e32 v3, v17
	ds_write2_b64 v71, v[0:1], v[10:11] offset0:96 offset1:112
	v_pk_add_f32 v[0:1], v[8:9], v[130:131]
	v_mov_b32_e32 v133, v145
	v_pk_add_f32 v[2:3], v[8:9], v[2:3]
	v_mov_b32_e32 v5, v21
	;; [unrolled: 2-line block ×8, first 2 shown]
	v_pk_add_f32 v[0:1], v[138:139], v[0:1]
	v_pk_add_f32 v[2:3], v[14:15], v[2:3]
	v_mov_b32_e32 v45, v119
	ds_write2_b64 v71, v[0:1], v[2:3] offset0:128 offset1:144
	v_pk_add_f32 v[0:1], v[8:9], v[44:45]
	v_mov_b32_e32 v51, v123
	v_pk_add_f32 v[0:1], v[50:51], v[0:1]
	v_mov_b32_e32 v57, v125
	v_pk_add_f32 v[0:1], v[56:57], v[0:1]
	v_mov_b32_e32 v111, v127
	v_pk_add_f32 v[0:1], v[110:111], v[0:1]
	v_mov_b32_e32 v117, v129
	v_pk_add_f32 v[0:1], v[116:117], v[0:1]
	ds_write_b64 v71, v[0:1] offset:1280
.LBB0_37:
	s_or_b64 exec, exec, s[0:1]
	v_add_u32_e32 v44, 0xa00, v70
	s_waitcnt lgkmcnt(0)
	s_barrier
	ds_read2_b64 v[0:3], v44 offset0:32 offset1:208
	v_add_u32_e32 v45, 0x2000, v70
	ds_read2_b64 v[8:11], v45 offset0:32 offset1:208
	ds_read2_b64 v[4:7], v70 offset1:176
	v_add_u32_e32 v46, 0x1400, v70
	s_waitcnt lgkmcnt(2)
	v_pk_mul_f32 v[12:13], v[24:25], v[2:3]
	s_mov_b32 s0, 0x3f5db3d7
	v_pk_fma_f32 v[14:15], v[100:101], v[2:3], v[12:13] op_sel:[0,0,1] op_sel_hi:[1,1,0]
	v_pk_fma_f32 v[2:3], v[100:101], v[2:3], v[12:13] op_sel:[0,0,1] op_sel_hi:[1,1,0] neg_lo:[0,0,1] neg_hi:[0,0,1]
	v_mov_b32_e32 v16, s12
	v_mov_b32_e32 v15, v3
	s_waitcnt lgkmcnt(1)
	v_pk_mul_f32 v[2:3], v[26:27], v[8:9]
	v_mov_b32_e32 v17, s13
	v_pk_fma_f32 v[12:13], v[98:99], v[8:9], v[2:3] op_sel:[0,0,1] op_sel_hi:[1,1,0]
	v_pk_fma_f32 v[2:3], v[98:99], v[8:9], v[2:3] op_sel:[0,0,1] op_sel_hi:[1,1,0] neg_lo:[0,0,1] neg_hi:[0,0,1]
	s_mul_hi_u32 s5, s8, 0xfffffc0c
	v_mov_b32_e32 v13, v3
	s_waitcnt lgkmcnt(0)
	v_pk_add_f32 v[2:3], v[4:5], v[14:15]
	s_mul_i32 s4, s9, 0xfffffc0c
	v_pk_add_f32 v[8:9], v[2:3], v[12:13]
	v_pk_add_f32 v[2:3], v[14:15], v[12:13]
	v_pk_add_f32 v[12:13], v[14:15], v[12:13] neg_lo:[0,1] neg_hi:[0,1]
	v_pk_fma_f32 v[18:19], v[2:3], 0.5, v[4:5] op_sel_hi:[1,0,1] neg_lo:[1,0,0] neg_hi:[1,0,0]
	ds_read2_b64 v[2:5], v46 offset0:64 offset1:240
	v_pk_mul_f32 v[12:13], v[12:13], s[0:1] op_sel_hi:[1,0]
	s_sub_i32 s5, s5, s8
	v_pk_add_f32 v[14:15], v[18:19], v[12:13] op_sel:[0,1] op_sel_hi:[1,0] neg_lo:[0,1] neg_hi:[0,1]
	v_pk_add_f32 v[12:13], v[18:19], v[12:13] op_sel:[0,1] op_sel_hi:[1,0]
	ds_read_b64 v[18:19], v70 offset:11264
	s_waitcnt lgkmcnt(1)
	v_pk_mul_f32 v[20:21], v[28:29], v[4:5]
	s_waitcnt lgkmcnt(0)
	v_pk_fma_f32 v[22:23], v[104:105], v[4:5], v[20:21] op_sel:[0,0,1] op_sel_hi:[1,1,0]
	v_pk_fma_f32 v[4:5], v[104:105], v[4:5], v[20:21] op_sel:[0,0,1] op_sel_hi:[1,1,0] neg_lo:[0,0,1] neg_hi:[0,0,1]
	s_barrier
	v_mov_b32_e32 v23, v5
	v_pk_mul_f32 v[4:5], v[30:31], v[18:19]
	s_nop 0
	v_pk_fma_f32 v[20:21], v[102:103], v[18:19], v[4:5] op_sel:[0,0,1] op_sel_hi:[1,1,0]
	v_pk_fma_f32 v[4:5], v[102:103], v[18:19], v[4:5] op_sel:[0,0,1] op_sel_hi:[1,1,0] neg_lo:[0,0,1] neg_hi:[0,0,1]
	s_add_i32 s5, s5, s4
	v_mov_b32_e32 v21, v5
	v_pk_add_f32 v[4:5], v[22:23], v[20:21]
	v_pk_add_f32 v[18:19], v[22:23], v[20:21] neg_lo:[0,1] neg_hi:[0,1]
	v_pk_fma_f32 v[4:5], v[4:5], 0.5, v[0:1] op_sel_hi:[1,0,1] neg_lo:[1,0,0] neg_hi:[1,0,0]
	v_pk_mul_f32 v[18:19], v[18:19], s[0:1] op_sel_hi:[1,0]
	v_pk_add_f32 v[0:1], v[0:1], v[22:23]
	v_pk_add_f32 v[28:29], v[4:5], v[18:19] op_sel:[0,1] op_sel_hi:[1,0]
	v_pk_add_f32 v[4:5], v[4:5], v[18:19] op_sel:[0,1] op_sel_hi:[1,0] neg_lo:[0,1] neg_hi:[0,1]
	v_pk_mul_f32 v[18:19], v[24:25], v[2:3]
	v_pk_add_f32 v[0:1], v[0:1], v[20:21]
	v_pk_fma_f32 v[24:25], v[100:101], v[2:3], v[18:19] op_sel:[0,0,1] op_sel_hi:[1,1,0]
	v_pk_fma_f32 v[2:3], v[100:101], v[2:3], v[18:19] op_sel:[0,0,1] op_sel_hi:[1,1,0] neg_lo:[0,0,1] neg_hi:[0,0,1]
	s_mul_i32 s4, s8, 0xfffffc0c
	v_mov_b32_e32 v25, v3
	v_pk_mul_f32 v[2:3], v[26:27], v[10:11]
	s_nop 0
	v_pk_fma_f32 v[18:19], v[98:99], v[10:11], v[2:3] op_sel:[0,0,1] op_sel_hi:[1,1,0]
	v_pk_fma_f32 v[2:3], v[98:99], v[10:11], v[2:3] op_sel:[0,0,1] op_sel_hi:[1,1,0] neg_lo:[0,0,1] neg_hi:[0,0,1]
	s_nop 0
	v_mov_b32_e32 v19, v3
	v_pk_add_f32 v[2:3], v[24:25], v[18:19]
	v_pk_add_f32 v[10:11], v[24:25], v[18:19] neg_lo:[0,1] neg_hi:[0,1]
	v_pk_fma_f32 v[2:3], v[2:3], 0.5, v[6:7] op_sel_hi:[1,0,1] neg_lo:[1,0,0] neg_hi:[1,0,0]
	v_pk_mul_f32 v[10:11], v[10:11], s[0:1] op_sel_hi:[1,0]
	v_pk_add_f32 v[6:7], v[6:7], v[24:25]
	v_pk_add_f32 v[26:27], v[2:3], v[10:11] op_sel:[0,1] op_sel_hi:[1,0]
	v_pk_add_f32 v[2:3], v[2:3], v[10:11] op_sel:[0,1] op_sel_hi:[1,0] neg_lo:[0,1] neg_hi:[0,1]
	v_mov_b32_e32 v10, v14
	v_mov_b32_e32 v11, v13
	;; [unrolled: 1-line block ×3, first 2 shown]
	v_pk_add_f32 v[6:7], v[6:7], v[18:19]
	ds_write2_b64 v70, v[8:9], v[10:11] offset1:176
	ds_write2_b64 v44, v[12:13], v[6:7] offset0:32 offset1:208
	v_mov_b32_e32 v6, v2
	v_mov_b32_e32 v7, v27
	;; [unrolled: 1-line block ×5, first 2 shown]
	v_add_u32_e32 v4, 0x2000, v106
	v_mov_b32_e32 v29, v5
	ds_write2_b64 v46, v[6:7], v[26:27] offset0:64 offset1:240
	ds_write2_b64 v4, v[0:1], v[2:3] offset0:32 offset1:208
	ds_write_b64 v106, v[28:29] offset:11264
	s_waitcnt lgkmcnt(0)
	s_barrier
	ds_read2_b64 v[0:3], v44 offset0:32 offset1:208
	ds_read2_b64 v[4:7], v70 offset1:176
	ds_read2_b64 v[8:11], v45 offset0:32 offset1:208
	v_mad_u64_u32 v[18:19], s[2:3], s10, v80, 0
	v_mov_b32_e32 v20, v19
	s_waitcnt lgkmcnt(2)
	v_pk_mul_f32 v[12:13], v[40:41], v[2:3]
	s_movk_i32 s10, 0x2000
	v_pk_fma_f32 v[22:23], v[96:97], v[2:3], v[12:13] op_sel:[0,0,1] op_sel_hi:[1,1,0]
	v_pk_fma_f32 v[2:3], v[96:97], v[2:3], v[12:13] op_sel:[0,0,1] op_sel_hi:[1,1,0] neg_lo:[0,0,1] neg_hi:[0,0,1]
	ds_read2_b64 v[12:15], v46 offset0:64 offset1:240
	v_mov_b32_e32 v23, v3
	s_waitcnt lgkmcnt(1)
	v_pk_mul_f32 v[2:3], v[42:43], v[8:9]
	s_waitcnt lgkmcnt(0)
	v_pk_mul_f32 v[28:29], v[32:33], v[14:15]
	v_pk_fma_f32 v[24:25], v[94:95], v[8:9], v[2:3] op_sel:[0,0,1] op_sel_hi:[1,1,0]
	v_pk_fma_f32 v[2:3], v[94:95], v[8:9], v[2:3] op_sel:[0,0,1] op_sel_hi:[1,1,0] neg_lo:[0,0,1] neg_hi:[0,0,1]
	v_pk_mul_f32 v[8:9], v[36:37], v[12:13]
	v_pk_fma_f32 v[30:31], v[64:65], v[14:15], v[28:29] op_sel:[0,0,1] op_sel_hi:[1,1,0]
	v_pk_fma_f32 v[26:27], v[68:69], v[12:13], v[8:9] op_sel:[0,0,1] op_sel_hi:[1,1,0]
	v_pk_fma_f32 v[8:9], v[68:69], v[12:13], v[8:9] op_sel:[0,0,1] op_sel_hi:[1,1,0] neg_lo:[0,0,1] neg_hi:[0,0,1]
	v_pk_fma_f32 v[14:15], v[64:65], v[14:15], v[28:29] op_sel:[0,0,1] op_sel_hi:[1,1,0] neg_lo:[0,0,1] neg_hi:[0,0,1]
	v_mov_b32_e32 v27, v9
	v_pk_mul_f32 v[8:9], v[38:39], v[10:11]
	v_mov_b32_e32 v25, v3
	v_pk_fma_f32 v[12:13], v[66:67], v[10:11], v[8:9] op_sel:[0,0,1] op_sel_hi:[1,1,0]
	v_pk_fma_f32 v[8:9], v[66:67], v[10:11], v[8:9] op_sel:[0,0,1] op_sel_hi:[1,1,0] neg_lo:[0,0,1] neg_hi:[0,0,1]
	ds_read_b64 v[10:11], v70 offset:11264
	v_mov_b32_e32 v31, v15
	v_pk_add_f32 v[2:3], v[4:5], v[22:23]
	v_mov_b32_e32 v13, v9
	v_pk_add_f32 v[2:3], v[2:3], v[24:25]
	s_waitcnt lgkmcnt(0)
	v_pk_mul_f32 v[14:15], v[34:35], v[10:11]
	v_pk_add_f32 v[8:9], v[6:7], v[26:27]
	v_pk_fma_f32 v[28:29], v[62:63], v[10:11], v[14:15] op_sel:[0,0,1] op_sel_hi:[1,1,0]
	v_pk_fma_f32 v[10:11], v[62:63], v[10:11], v[14:15] op_sel:[0,0,1] op_sel_hi:[1,1,0] neg_lo:[0,0,1] neg_hi:[0,0,1]
	v_pk_add_f32 v[14:15], v[22:23], v[24:25]
	v_pk_add_f32 v[8:9], v[8:9], v[12:13]
	v_pk_fma_f32 v[4:5], v[14:15], 0.5, v[4:5] op_sel_hi:[1,0,1] neg_lo:[1,0,0] neg_hi:[1,0,0]
	v_pk_add_f32 v[14:15], v[22:23], v[24:25] neg_lo:[0,1] neg_hi:[0,1]
	v_mov_b32_e32 v29, v11
	v_pk_mul_f32 v[14:15], v[14:15], s[0:1] op_sel_hi:[1,0]
	v_pk_add_f32 v[10:11], v[0:1], v[30:31]
	v_pk_add_f32 v[22:23], v[4:5], v[14:15] op_sel:[0,1] op_sel_hi:[1,0] neg_lo:[0,1] neg_hi:[0,1]
	v_pk_add_f32 v[4:5], v[4:5], v[14:15] op_sel:[0,1] op_sel_hi:[1,0]
	v_mov_b32_e32 v15, v23
	v_mov_b32_e32 v14, v4
	;; [unrolled: 1-line block ×3, first 2 shown]
	ds_write_b64 v70, v[14:15] offset:8448
	ds_write_b64 v70, v[22:23] offset:4224
	ds_write2_b64 v70, v[2:3], v[8:9] offset1:176
	v_pk_add_f32 v[2:3], v[26:27], v[12:13]
	v_pk_add_f32 v[4:5], v[26:27], v[12:13] neg_lo:[0,1] neg_hi:[0,1]
	v_pk_fma_f32 v[2:3], v[2:3], 0.5, v[6:7] op_sel_hi:[1,0,1] neg_lo:[1,0,0] neg_hi:[1,0,0]
	v_pk_mul_f32 v[4:5], v[4:5], s[0:1] op_sel_hi:[1,0]
	v_pk_add_f32 v[10:11], v[10:11], v[28:29]
	v_pk_add_f32 v[6:7], v[2:3], v[4:5] op_sel:[0,1] op_sel_hi:[1,0] neg_lo:[0,1] neg_hi:[0,1]
	v_pk_add_f32 v[2:3], v[2:3], v[4:5] op_sel:[0,1] op_sel_hi:[1,0]
	v_mov_b32_e32 v5, v7
	v_mov_b32_e32 v4, v2
	;; [unrolled: 1-line block ×3, first 2 shown]
	v_pk_add_f32 v[2:3], v[30:31], v[28:29]
	ds_write_b64 v70, v[4:5] offset:9856
	v_pk_fma_f32 v[0:1], v[2:3], 0.5, v[0:1] op_sel_hi:[1,0,1] neg_lo:[1,0,0] neg_hi:[1,0,0]
	v_pk_add_f32 v[2:3], v[30:31], v[28:29] neg_lo:[0,1] neg_hi:[0,1]
	ds_write_b64 v70, v[10:11] offset:2816
	v_pk_mul_f32 v[2:3], v[2:3], s[0:1] op_sel_hi:[1,0]
	s_nop 0
	v_pk_add_f32 v[4:5], v[0:1], v[2:3] op_sel:[0,1] op_sel_hi:[1,0] neg_lo:[0,1] neg_hi:[0,1]
	v_pk_add_f32 v[0:1], v[0:1], v[2:3] op_sel:[0,1] op_sel_hi:[1,0]
	v_mov_b32_e32 v2, v4
	v_mov_b32_e32 v3, v1
	;; [unrolled: 1-line block ×3, first 2 shown]
	ds_write2_b64 v46, v[6:7], v[2:3] offset0:64 offset1:240
	ds_write_b64 v70, v[0:1] offset:11264
	s_waitcnt lgkmcnt(0)
	s_barrier
	ds_read2_b64 v[0:3], v70 offset1:176
	v_mad_u64_u32 v[4:5], s[0:1], s11, v80, v[20:21]
	v_mov_b32_e32 v19, v4
	s_mov_b32 s0, 0xa052bf5b
	s_waitcnt lgkmcnt(0)
	v_mul_f32_e32 v4, v93, v1
	v_fmac_f32_e32 v4, v92, v0
	v_mul_f32_e32 v0, v93, v0
	v_fma_f32 v0, v92, v1, -v0
	s_mov_b32 s1, 0x3f44afd6
	v_cvt_f64_f32_e32 v[0:1], v0
	v_cvt_f64_f32_e32 v[4:5], v4
	v_mul_f64 v[0:1], v[0:1], s[0:1]
	v_mul_f64 v[4:5], v[4:5], s[0:1]
	v_cvt_f32_f64_e32 v9, v[0:1]
	v_mad_u64_u32 v[0:1], s[2:3], s8, v74, 0
	v_cvt_f32_f64_e32 v8, v[4:5]
	v_mov_b32_e32 v4, v1
	v_add_u32_e32 v1, 0xc00, v70
	v_mad_u64_u32 v[10:11], s[2:3], s9, v74, v[4:5]
	ds_read2_b64 v[4:7], v1 offset0:12 offset1:188
	v_mov_b32_e32 v1, v10
	v_lshl_add_u64 v[10:11], v[18:19], 3, v[16:17]
	v_lshl_add_u64 v[0:1], v[0:1], 3, v[10:11]
	global_store_dwordx2 v[0:1], v[8:9], off
	s_waitcnt lgkmcnt(0)
	v_mul_f32_e32 v8, v91, v5
	v_fmac_f32_e32 v8, v90, v4
	v_mul_f32_e32 v4, v91, v4
	v_fma_f32 v4, v90, v5, -v4
	v_cvt_f64_f32_e32 v[4:5], v4
	v_cvt_f64_f32_e32 v[8:9], v8
	v_mul_f64 v[4:5], v[4:5], s[0:1]
	v_mul_f64 v[8:9], v[8:9], s[0:1]
	v_cvt_f32_f64_e32 v13, v[4:5]
	v_add_u32_e32 v4, 0x1800, v70
	v_cvt_f32_f64_e32 v12, v[8:9]
	ds_read2_b64 v[8:11], v4 offset0:24 offset1:200
	s_mul_i32 s2, s9, 0x18c
	s_mul_hi_u32 s3, s8, 0x18c
	s_add_i32 s3, s3, s2
	s_mul_i32 s2, s8, 0x18c
	s_waitcnt lgkmcnt(0)
	v_mul_f32_e32 v4, v89, v9
	v_fmac_f32_e32 v4, v88, v8
	v_cvt_f64_f32_e32 v[4:5], v4
	v_mul_f64 v[4:5], v[4:5], s[0:1]
	v_cvt_f32_f64_e32 v4, v[4:5]
	v_mul_f32_e32 v5, v89, v8
	s_lshl_b64 s[2:3], s[2:3], 3
	v_fma_f32 v5, v88, v9, -v5
	v_lshl_add_u64 v[0:1], v[0:1], 0, s[2:3]
	v_cvt_f64_f32_e32 v[8:9], v5
	v_add_u32_e32 v5, 0x2400, v70
	global_store_dwordx2 v[0:1], v[12:13], off
	ds_read2_b64 v[12:15], v5 offset0:36 offset1:212
	v_mul_f64 v[8:9], v[8:9], s[0:1]
	v_cvt_f32_f64_e32 v5, v[8:9]
	v_lshl_add_u64 v[0:1], v[0:1], 0, s[2:3]
	global_store_dwordx2 v[0:1], v[4:5], off
	s_waitcnt lgkmcnt(0)
	v_mul_f32_e32 v4, v83, v13
	v_fmac_f32_e32 v4, v82, v12
	v_cvt_f64_f32_e32 v[4:5], v4
	v_mul_f64 v[4:5], v[4:5], s[0:1]
	v_cvt_f32_f64_e32 v4, v[4:5]
	v_mul_f32_e32 v5, v83, v12
	v_fma_f32 v5, v82, v13, -v5
	v_cvt_f64_f32_e32 v[8:9], v5
	v_mul_f64 v[8:9], v[8:9], s[0:1]
	v_cvt_f32_f64_e32 v5, v[8:9]
	v_lshl_add_u64 v[0:1], v[0:1], 0, s[2:3]
	global_store_dwordx2 v[0:1], v[4:5], off
	v_mul_f32_e32 v4, v85, v3
	v_fmac_f32_e32 v4, v84, v2
	v_mul_f32_e32 v2, v85, v2
	v_fma_f32 v2, v84, v3, -v2
	v_cvt_f64_f32_e32 v[4:5], v4
	v_cvt_f64_f32_e32 v[2:3], v2
	v_mul_f64 v[4:5], v[4:5], s[0:1]
	v_mul_f64 v[2:3], v[2:3], s[0:1]
	v_cvt_f32_f64_e32 v4, v[4:5]
	v_cvt_f32_f64_e32 v5, v[2:3]
	v_mul_f32_e32 v2, v87, v7
	v_fmac_f32_e32 v2, v86, v6
	v_cvt_f64_f32_e32 v[2:3], v2
	v_mul_f64 v[2:3], v[2:3], s[0:1]
	v_cvt_f32_f64_e32 v2, v[2:3]
	v_mul_f32_e32 v3, v87, v6
	v_lshl_add_u64 v[0:1], s[4:5], 3, v[0:1]
	v_fma_f32 v3, v86, v7, -v3
	global_store_dwordx2 v[0:1], v[4:5], off
	v_cvt_f64_f32_e32 v[4:5], v3
	v_mul_f64 v[4:5], v[4:5], s[0:1]
	v_cvt_f32_f64_e32 v3, v[4:5]
	v_lshl_add_u64 v[0:1], v[0:1], 0, s[2:3]
	global_store_dwordx2 v[0:1], v[2:3], off
	v_mul_f32_e32 v2, v79, v11
	v_fmac_f32_e32 v2, v78, v10
	v_cvt_f64_f32_e32 v[2:3], v2
	v_mul_f64 v[2:3], v[2:3], s[0:1]
	v_cvt_f32_f64_e32 v2, v[2:3]
	v_mul_f32_e32 v3, v79, v10
	v_fma_f32 v3, v78, v11, -v3
	v_cvt_f64_f32_e32 v[4:5], v3
	v_mul_f64 v[4:5], v[4:5], s[0:1]
	v_cvt_f32_f64_e32 v3, v[4:5]
	v_lshl_add_u64 v[0:1], v[0:1], 0, s[2:3]
	global_store_dwordx2 v[0:1], v[2:3], off
	v_mul_f32_e32 v2, v77, v15
	v_fmac_f32_e32 v2, v76, v14
	v_cvt_f64_f32_e32 v[2:3], v2
	v_mul_f64 v[2:3], v[2:3], s[0:1]
	v_cvt_f32_f64_e32 v2, v[2:3]
	v_mul_f32_e32 v3, v77, v14
	v_fma_f32 v3, v76, v15, -v3
	v_cvt_f64_f32_e32 v[4:5], v3
	v_mul_f64 v[4:5], v[4:5], s[0:1]
	v_cvt_f32_f64_e32 v3, v[4:5]
	v_lshl_add_u64 v[0:1], v[0:1], 0, s[2:3]
	global_store_dwordx2 v[0:1], v[2:3], off
	s_and_b64 exec, exec, s[6:7]
	s_cbranch_execz .LBB0_39
; %bb.38:
	s_movk_i32 s6, 0x1000
	v_add_co_u32_e32 v4, vcc, s6, v72
	global_load_dwordx2 v[2:3], v[72:73], off offset:2816
	s_nop 0
	v_addc_co_u32_e32 v5, vcc, 0, v73, vcc
	v_add_co_u32_e32 v6, vcc, s10, v72
	s_movk_i32 s6, 0x3000
	s_nop 0
	v_addc_co_u32_e32 v7, vcc, 0, v73, vcc
	global_load_dwordx2 v[8:9], v[4:5], off offset:1888
	global_load_dwordx2 v[10:11], v[6:7], off offset:960
	v_add_co_u32_e32 v4, vcc, s6, v72
	v_lshl_add_u64 v[0:1], s[4:5], 3, v[0:1]
	s_nop 0
	v_addc_co_u32_e32 v5, vcc, 0, v73, vcc
	global_load_dwordx2 v[4:5], v[4:5], off offset:32
	ds_read_b64 v[6:7], v70 offset:2816
	ds_read_b64 v[12:13], v70 offset:5984
	;; [unrolled: 1-line block ×4, first 2 shown]
	v_lshl_add_u64 v[18:19], v[0:1], 0, s[2:3]
	v_lshl_add_u64 v[20:21], v[18:19], 0, s[2:3]
	;; [unrolled: 1-line block ×3, first 2 shown]
	s_waitcnt vmcnt(3) lgkmcnt(3)
	v_mul_f32_e32 v24, v7, v3
	v_mul_f32_e32 v3, v6, v3
	v_fmac_f32_e32 v24, v6, v2
	v_fma_f32 v6, v2, v7, -v3
	v_cvt_f64_f32_e32 v[2:3], v24
	v_cvt_f64_f32_e32 v[6:7], v6
	v_mul_f64 v[2:3], v[2:3], s[0:1]
	s_waitcnt vmcnt(2) lgkmcnt(2)
	v_mul_f32_e32 v24, v13, v9
	v_mul_f32_e32 v9, v12, v9
	s_waitcnt vmcnt(1) lgkmcnt(1)
	v_mul_f32_e32 v25, v15, v11
	v_mul_f32_e32 v11, v14, v11
	v_mul_f64 v[6:7], v[6:7], s[0:1]
	v_fmac_f32_e32 v24, v12, v8
	v_fma_f32 v8, v8, v13, -v9
	s_waitcnt vmcnt(0) lgkmcnt(0)
	v_mul_f32_e32 v26, v17, v5
	v_mul_f32_e32 v5, v16, v5
	v_fmac_f32_e32 v25, v14, v10
	v_fma_f32 v10, v10, v15, -v11
	v_fmac_f32_e32 v26, v16, v4
	v_fma_f32 v14, v4, v17, -v5
	v_cvt_f32_f64_e32 v2, v[2:3]
	v_cvt_f32_f64_e32 v3, v[6:7]
	v_cvt_f64_f32_e32 v[4:5], v24
	v_cvt_f64_f32_e32 v[6:7], v8
	;; [unrolled: 1-line block ×6, first 2 shown]
	global_store_dwordx2 v[0:1], v[2:3], off
	v_mul_f64 v[0:1], v[4:5], s[0:1]
	v_mul_f64 v[2:3], v[6:7], s[0:1]
	;; [unrolled: 1-line block ×6, first 2 shown]
	v_cvt_f32_f64_e32 v0, v[0:1]
	v_cvt_f32_f64_e32 v1, v[2:3]
	;; [unrolled: 1-line block ×6, first 2 shown]
	global_store_dwordx2 v[18:19], v[0:1], off
	global_store_dwordx2 v[20:21], v[2:3], off
	;; [unrolled: 1-line block ×3, first 2 shown]
.LBB0_39:
	s_endpgm
	.section	.rodata,"a",@progbits
	.p2align	6, 0x0
	.amdhsa_kernel bluestein_single_fwd_len1584_dim1_sp_op_CI_CI
		.amdhsa_group_segment_fixed_size 12672
		.amdhsa_private_segment_fixed_size 0
		.amdhsa_kernarg_size 104
		.amdhsa_user_sgpr_count 2
		.amdhsa_user_sgpr_dispatch_ptr 0
		.amdhsa_user_sgpr_queue_ptr 0
		.amdhsa_user_sgpr_kernarg_segment_ptr 1
		.amdhsa_user_sgpr_dispatch_id 0
		.amdhsa_user_sgpr_kernarg_preload_length 0
		.amdhsa_user_sgpr_kernarg_preload_offset 0
		.amdhsa_user_sgpr_private_segment_size 0
		.amdhsa_uses_dynamic_stack 0
		.amdhsa_enable_private_segment 0
		.amdhsa_system_sgpr_workgroup_id_x 1
		.amdhsa_system_sgpr_workgroup_id_y 0
		.amdhsa_system_sgpr_workgroup_id_z 0
		.amdhsa_system_sgpr_workgroup_info 0
		.amdhsa_system_vgpr_workitem_id 0
		.amdhsa_next_free_vgpr 174
		.amdhsa_next_free_sgpr 44
		.amdhsa_accum_offset 176
		.amdhsa_reserve_vcc 1
		.amdhsa_float_round_mode_32 0
		.amdhsa_float_round_mode_16_64 0
		.amdhsa_float_denorm_mode_32 3
		.amdhsa_float_denorm_mode_16_64 3
		.amdhsa_dx10_clamp 1
		.amdhsa_ieee_mode 1
		.amdhsa_fp16_overflow 0
		.amdhsa_tg_split 0
		.amdhsa_exception_fp_ieee_invalid_op 0
		.amdhsa_exception_fp_denorm_src 0
		.amdhsa_exception_fp_ieee_div_zero 0
		.amdhsa_exception_fp_ieee_overflow 0
		.amdhsa_exception_fp_ieee_underflow 0
		.amdhsa_exception_fp_ieee_inexact 0
		.amdhsa_exception_int_div_zero 0
	.end_amdhsa_kernel
	.text
.Lfunc_end0:
	.size	bluestein_single_fwd_len1584_dim1_sp_op_CI_CI, .Lfunc_end0-bluestein_single_fwd_len1584_dim1_sp_op_CI_CI
                                        ; -- End function
	.section	.AMDGPU.csdata,"",@progbits
; Kernel info:
; codeLenInByte = 12368
; NumSgprs: 50
; NumVgprs: 174
; NumAgprs: 0
; TotalNumVgprs: 174
; ScratchSize: 0
; MemoryBound: 0
; FloatMode: 240
; IeeeMode: 1
; LDSByteSize: 12672 bytes/workgroup (compile time only)
; SGPRBlocks: 6
; VGPRBlocks: 21
; NumSGPRsForWavesPerEU: 50
; NumVGPRsForWavesPerEU: 174
; AccumOffset: 176
; Occupancy: 2
; WaveLimiterHint : 1
; COMPUTE_PGM_RSRC2:SCRATCH_EN: 0
; COMPUTE_PGM_RSRC2:USER_SGPR: 2
; COMPUTE_PGM_RSRC2:TRAP_HANDLER: 0
; COMPUTE_PGM_RSRC2:TGID_X_EN: 1
; COMPUTE_PGM_RSRC2:TGID_Y_EN: 0
; COMPUTE_PGM_RSRC2:TGID_Z_EN: 0
; COMPUTE_PGM_RSRC2:TIDIG_COMP_CNT: 0
; COMPUTE_PGM_RSRC3_GFX90A:ACCUM_OFFSET: 43
; COMPUTE_PGM_RSRC3_GFX90A:TG_SPLIT: 0
	.text
	.p2alignl 6, 3212836864
	.fill 256, 4, 3212836864
	.type	__hip_cuid_c49bf481204cdf24,@object ; @__hip_cuid_c49bf481204cdf24
	.section	.bss,"aw",@nobits
	.globl	__hip_cuid_c49bf481204cdf24
__hip_cuid_c49bf481204cdf24:
	.byte	0                               ; 0x0
	.size	__hip_cuid_c49bf481204cdf24, 1

	.ident	"AMD clang version 19.0.0git (https://github.com/RadeonOpenCompute/llvm-project roc-6.4.0 25133 c7fe45cf4b819c5991fe208aaa96edf142730f1d)"
	.section	".note.GNU-stack","",@progbits
	.addrsig
	.addrsig_sym __hip_cuid_c49bf481204cdf24
	.amdgpu_metadata
---
amdhsa.kernels:
  - .agpr_count:     0
    .args:
      - .actual_access:  read_only
        .address_space:  global
        .offset:         0
        .size:           8
        .value_kind:     global_buffer
      - .actual_access:  read_only
        .address_space:  global
        .offset:         8
        .size:           8
        .value_kind:     global_buffer
      - .actual_access:  read_only
        .address_space:  global
        .offset:         16
        .size:           8
        .value_kind:     global_buffer
      - .actual_access:  read_only
        .address_space:  global
        .offset:         24
        .size:           8
        .value_kind:     global_buffer
      - .actual_access:  read_only
        .address_space:  global
        .offset:         32
        .size:           8
        .value_kind:     global_buffer
      - .offset:         40
        .size:           8
        .value_kind:     by_value
      - .address_space:  global
        .offset:         48
        .size:           8
        .value_kind:     global_buffer
      - .address_space:  global
        .offset:         56
        .size:           8
        .value_kind:     global_buffer
      - .address_space:  global
        .offset:         64
        .size:           8
        .value_kind:     global_buffer
      - .address_space:  global
        .offset:         72
        .size:           8
        .value_kind:     global_buffer
      - .offset:         80
        .size:           4
        .value_kind:     by_value
      - .address_space:  global
        .offset:         88
        .size:           8
        .value_kind:     global_buffer
      - .address_space:  global
        .offset:         96
        .size:           8
        .value_kind:     global_buffer
    .group_segment_fixed_size: 12672
    .kernarg_segment_align: 8
    .kernarg_segment_size: 104
    .language:       OpenCL C
    .language_version:
      - 2
      - 0
    .max_flat_workgroup_size: 176
    .name:           bluestein_single_fwd_len1584_dim1_sp_op_CI_CI
    .private_segment_fixed_size: 0
    .sgpr_count:     50
    .sgpr_spill_count: 0
    .symbol:         bluestein_single_fwd_len1584_dim1_sp_op_CI_CI.kd
    .uniform_work_group_size: 1
    .uses_dynamic_stack: false
    .vgpr_count:     174
    .vgpr_spill_count: 0
    .wavefront_size: 64
amdhsa.target:   amdgcn-amd-amdhsa--gfx950
amdhsa.version:
  - 1
  - 2
...

	.end_amdgpu_metadata
